;; amdgpu-corpus repo=ROCm/rocFFT kind=compiled arch=gfx1030 opt=O3
	.text
	.amdgcn_target "amdgcn-amd-amdhsa--gfx1030"
	.amdhsa_code_object_version 6
	.protected	bluestein_single_fwd_len1632_dim1_half_op_CI_CI ; -- Begin function bluestein_single_fwd_len1632_dim1_half_op_CI_CI
	.globl	bluestein_single_fwd_len1632_dim1_half_op_CI_CI
	.p2align	8
	.type	bluestein_single_fwd_len1632_dim1_half_op_CI_CI,@function
bluestein_single_fwd_len1632_dim1_half_op_CI_CI: ; @bluestein_single_fwd_len1632_dim1_half_op_CI_CI
; %bb.0:
	s_mov_b64 s[18:19], s[2:3]
	s_mov_b64 s[16:17], s[0:1]
	s_load_dwordx4 s[0:3], s[4:5], 0x28
	v_mul_u32_u24_e32 v1, 0x283, v0
	v_mov_b32_e32 v188, 0
	s_add_u32 s16, s16, s7
	s_addc_u32 s17, s17, 0
	v_lshrrev_b32_e32 v1, 16, v1
	v_add_nc_u32_e32 v187, s6, v1
	s_waitcnt lgkmcnt(0)
	v_cmp_gt_u64_e32 vcc_lo, s[0:1], v[187:188]
	s_and_saveexec_b32 s0, vcc_lo
	s_cbranch_execz .LBB0_23
; %bb.1:
	v_mul_lo_u16 v1, 0x66, v1
	s_clause 0x1
	s_load_dwordx2 s[12:13], s[4:5], 0x0
	s_load_dwordx2 s[14:15], s[4:5], 0x38
	v_sub_nc_u16 v0, v0, v1
	v_and_b32_e32 v48, 0xffff, v0
	v_cmp_gt_u16_e32 vcc_lo, 0x60, v0
	v_lshlrev_b32_e32 v44, 2, v48
	v_or_b32_e32 v183, 0x180, v48
	v_or_b32_e32 v182, 0x300, v48
	;; [unrolled: 1-line block ×4, first 2 shown]
	s_and_saveexec_b32 s1, vcc_lo
	s_cbranch_execz .LBB0_3
; %bb.2:
	s_load_dwordx2 s[6:7], s[4:5], 0x18
	v_lshlrev_b32_e32 v0, 2, v182
	v_lshlrev_b32_e32 v1, 2, v181
	;; [unrolled: 1-line block ×3, first 2 shown]
	v_add_nc_u32_e32 v38, 0xc00, v44
	v_add_nc_u32_e32 v39, 0xe00, v44
	;; [unrolled: 1-line block ×4, first 2 shown]
	s_waitcnt lgkmcnt(0)
	s_load_dwordx4 s[8:11], s[6:7], 0x0
	s_clause 0x7
	global_load_dword v20, v44, s[12:13]
	global_load_dword v21, v44, s[12:13] offset:384
	global_load_dword v22, v44, s[12:13] offset:768
	;; [unrolled: 1-line block ×5, first 2 shown]
	global_load_dword v27, v0, s[12:13]
	global_load_dword v28, v1, s[12:13]
	s_waitcnt lgkmcnt(0)
	v_mad_u64_u32 v[0:1], null, s10, v187, 0
	v_mad_u64_u32 v[2:3], null, s8, v48, 0
	v_mad_u64_u32 v[4:5], null, s8, v183, 0
	v_mad_u64_u32 v[6:7], null, s8, v182, 0
	v_mad_u64_u32 v[8:9], null, s8, v181, 0
	v_mad_u64_u32 v[10:11], null, s8, v180, 0
	v_mad_u64_u32 v[12:13], null, s11, v187, v[1:2]
	v_mad_u64_u32 v[15:16], null, s9, v48, v[3:4]
	v_mad_u64_u32 v[16:17], null, s9, v182, v[7:8]
	v_mad_u64_u32 v[17:18], null, s9, v181, v[9:10]
	v_mov_b32_e32 v1, v12
	v_mad_u64_u32 v[18:19], null, s9, v180, v[11:12]
	v_mov_b32_e32 v3, v15
	v_mov_b32_e32 v7, v16
	v_lshlrev_b64 v[0:1], 2, v[0:1]
	v_mov_b32_e32 v9, v17
	s_mul_i32 s0, s9, 0x180
	s_mul_hi_u32 s6, s8, 0x180
	v_lshlrev_b64 v[2:3], 2, v[2:3]
	s_add_i32 s6, s6, s0
	v_mad_u64_u32 v[12:13], null, s9, v183, v[5:6]
	v_lshlrev_b64 v[5:6], 2, v[6:7]
	v_lshlrev_b64 v[7:8], 2, v[8:9]
	v_add_co_u32 v9, s0, s2, v0
	v_add_co_ci_u32_e64 v13, s0, s3, v1, s0
	v_mov_b32_e32 v11, v18
	v_add_co_u32 v2, s0, v9, v2
	v_add_co_ci_u32_e64 v3, s0, v13, v3, s0
	v_lshlrev_b64 v[0:1], 2, v[10:11]
	v_add_co_u32 v5, s0, v9, v5
	v_add_co_ci_u32_e64 v6, s0, v13, v6, s0
	v_add_co_u32 v7, s0, v9, v7
	v_add_co_ci_u32_e64 v8, s0, v13, v8, s0
	v_add_co_u32 v0, s0, v9, v0
	s_mul_i32 s7, s8, 0x180
	v_add_co_ci_u32_e64 v1, s0, v13, v1, s0
	global_load_dword v10, v[2:3], off
	v_add_co_u32 v2, s0, v2, s7
	v_add_co_ci_u32_e64 v3, s0, s6, v3, s0
	s_clause 0x1
	global_load_dword v11, v[5:6], off
	global_load_dword v8, v[7:8], off
	v_mov_b32_e32 v5, v12
	v_add_co_u32 v6, s0, v2, s7
	v_add_co_ci_u32_e64 v7, s0, s6, v3, s0
	global_load_dword v12, v[0:1], off
	global_load_dword v15, v26, s[12:13]
	s_clause 0x1
	global_load_dword v16, v[2:3], off
	global_load_dword v17, v[6:7], off
	v_lshlrev_b64 v[0:1], 2, v[4:5]
	v_add_co_u32 v2, s0, v6, s7
	v_add_co_ci_u32_e64 v3, s0, s6, v7, s0
	s_mul_i32 s2, s9, 0x300
	s_mul_hi_u32 s3, s8, 0x300
	v_add_co_u32 v0, s0, v9, v0
	s_add_i32 s3, s3, s2
	s_mul_i32 s2, s8, 0x300
	v_add_co_ci_u32_e64 v1, s0, v13, v1, s0
	v_add_co_u32 v4, s0, v2, s2
	v_add_co_ci_u32_e64 v5, s0, s3, v3, s0
	s_clause 0x1
	global_load_dword v9, v[2:3], off
	global_load_dword v13, v[0:1], off
	v_add_co_u32 v0, s0, v4, s7
	v_add_co_ci_u32_e64 v1, s0, s6, v5, s0
	v_add_co_u32 v18, s0, s12, v44
	v_add_co_ci_u32_e64 v19, null, s13, 0, s0
	global_load_dword v26, v[4:5], off
	global_load_dword v29, v[0:1], off
	v_add_co_u32 v2, s0, 0x800, v18
	v_add_co_ci_u32_e64 v3, s0, 0, v19, s0
	v_add_co_u32 v0, s0, v0, s7
	v_add_co_ci_u32_e64 v1, s0, s6, v1, s0
	s_clause 0x1
	global_load_dword v30, v[2:3], off offset:256
	global_load_dword v32, v[2:3], off offset:640
	v_add_co_u32 v4, s0, v0, s2
	v_add_co_ci_u32_e64 v5, s0, s3, v1, s0
	global_load_dword v31, v[0:1], off
	v_add_co_u32 v0, s0, v4, s7
	v_add_co_ci_u32_e64 v1, s0, s6, v5, s0
	v_add_co_u32 v6, s0, v0, s7
	v_add_co_ci_u32_e64 v7, s0, s6, v1, s0
	global_load_dword v33, v[4:5], off
	global_load_dword v34, v[0:1], off
	s_clause 0x1
	global_load_dword v35, v[2:3], off offset:1408
	global_load_dword v36, v[2:3], off offset:1792
	global_load_dword v37, v[6:7], off
	v_add_co_u32 v0, s0, 0x1000, v18
	v_add_co_ci_u32_e64 v1, s0, 0, v19, s0
	v_add_co_u32 v2, s0, v6, s2
	v_add_co_ci_u32_e64 v3, s0, s3, v7, s0
	global_load_dword v6, v[0:1], off offset:128
	v_add_co_u32 v4, s0, v2, s7
	v_add_co_ci_u32_e64 v5, s0, s6, v3, s0
	global_load_dword v7, v[2:3], off
	v_add_co_u32 v2, s0, v4, s7
	v_add_co_ci_u32_e64 v3, s0, s6, v5, s0
	global_load_dword v18, v[0:1], off offset:896
	global_load_dword v4, v[4:5], off
	global_load_dword v2, v[2:3], off
	s_clause 0x1
	global_load_dword v3, v[0:1], off offset:1280
	global_load_dword v0, v[0:1], off offset:1664
	v_add_nc_u32_e32 v1, 0x200, v44
	v_add_nc_u32_e32 v5, 0x400, v44
	;; [unrolled: 1-line block ×3, first 2 shown]
	s_waitcnt vmcnt(25)
	v_lshrrev_b32_e32 v42, 16, v10
	v_mul_f16_sdwa v49, v20, v10 dst_sel:DWORD dst_unused:UNUSED_PAD src0_sel:WORD_1 src1_sel:DWORD
	s_waitcnt vmcnt(24)
	v_lshrrev_b32_e32 v50, 16, v11
	v_mul_f16_sdwa v51, v27, v11 dst_sel:DWORD dst_unused:UNUSED_PAD src0_sel:WORD_1 src1_sel:DWORD
	;; [unrolled: 3-line block ×4, first 2 shown]
	v_fma_f16 v42, v20, v42, -v49
	s_waitcnt vmcnt(20)
	v_lshrrev_b32_e32 v49, 16, v16
	v_mul_f16_sdwa v57, v21, v16 dst_sel:DWORD dst_unused:UNUSED_PAD src0_sel:WORD_1 src1_sel:DWORD
	v_mul_f16_sdwa v55, v15, v12 dst_sel:DWORD dst_unused:UNUSED_PAD src0_sel:WORD_1 src1_sel:DWORD
	;; [unrolled: 1-line block ×3, first 2 shown]
	v_fma_f16 v50, v27, v50, -v51
	v_mul_f16_sdwa v51, v28, v52 dst_sel:DWORD dst_unused:UNUSED_PAD src0_sel:WORD_1 src1_sel:DWORD
	v_fma_f16 v52, v28, v52, -v53
	v_mul_f16_sdwa v53, v15, v54 dst_sel:DWORD dst_unused:UNUSED_PAD src0_sel:WORD_1 src1_sel:DWORD
	v_fmac_f16_e32 v56, v20, v10
	v_mul_f16_sdwa v10, v21, v49 dst_sel:DWORD dst_unused:UNUSED_PAD src0_sel:WORD_1 src1_sel:DWORD
	v_fma_f16 v20, v21, v49, -v57
	s_waitcnt vmcnt(19)
	v_lshrrev_b32_e32 v49, 16, v17
	v_fma_f16 v54, v15, v54, -v55
	v_mul_f16_sdwa v55, v22, v17 dst_sel:DWORD dst_unused:UNUSED_PAD src0_sel:WORD_1 src1_sel:DWORD
	v_fmac_f16_e32 v58, v27, v11
	v_fmac_f16_e32 v53, v15, v12
	;; [unrolled: 1-line block ×3, first 2 shown]
	v_mul_f16_sdwa v11, v22, v49 dst_sel:DWORD dst_unused:UNUSED_PAD src0_sel:WORD_1 src1_sel:DWORD
	s_waitcnt vmcnt(18)
	v_lshrrev_b32_e32 v15, 16, v9
	v_mul_f16_sdwa v16, v23, v9 dst_sel:DWORD dst_unused:UNUSED_PAD src0_sel:WORD_1 src1_sel:DWORD
	s_waitcnt vmcnt(17)
	v_lshrrev_b32_e32 v21, 16, v13
	v_mul_f16_sdwa v27, v24, v13 dst_sel:DWORD dst_unused:UNUSED_PAD src0_sel:WORD_1 src1_sel:DWORD
	v_fmac_f16_e32 v51, v28, v8
	v_pack_b32_f16 v8, v56, v42
	v_fma_f16 v12, v22, v49, -v55
	v_pack_b32_f16 v10, v10, v20
	v_fmac_f16_e32 v11, v22, v17
	v_mul_f16_sdwa v17, v23, v15 dst_sel:DWORD dst_unused:UNUSED_PAD src0_sel:WORD_1 src1_sel:DWORD
	v_fma_f16 v15, v23, v15, -v16
	v_mul_f16_sdwa v16, v24, v21 dst_sel:DWORD dst_unused:UNUSED_PAD src0_sel:WORD_1 src1_sel:DWORD
	v_fma_f16 v20, v24, v21, -v27
	s_waitcnt vmcnt(16)
	v_lshrrev_b32_e32 v21, 16, v26
	v_mul_f16_sdwa v22, v25, v26 dst_sel:DWORD dst_unused:UNUSED_PAD src0_sel:WORD_1 src1_sel:DWORD
	ds_write2_b32 v44, v8, v10 offset1:96
	v_pack_b32_f16 v8, v11, v12
	v_fmac_f16_e32 v17, v23, v9
	v_fmac_f16_e32 v16, v24, v13
	v_mul_f16_sdwa v9, v25, v21 dst_sel:DWORD dst_unused:UNUSED_PAD src0_sel:WORD_1 src1_sel:DWORD
	s_waitcnt vmcnt(15)
	v_lshrrev_b32_e32 v11, 16, v29
	s_waitcnt vmcnt(14)
	v_mul_f16_sdwa v12, v30, v29 dst_sel:DWORD dst_unused:UNUSED_PAD src0_sel:WORD_1 src1_sel:DWORD
	v_fma_f16 v10, v25, v21, -v22
	v_pack_b32_f16 v13, v17, v15
	v_pack_b32_f16 v15, v16, v20
	v_fmac_f16_e32 v9, v25, v26
	v_mul_f16_sdwa v16, v30, v11 dst_sel:DWORD dst_unused:UNUSED_PAD src0_sel:WORD_1 src1_sel:DWORD
	v_fma_f16 v11, v30, v11, -v12
	s_waitcnt vmcnt(12)
	v_lshrrev_b32_e32 v12, 16, v31
	v_mul_f16_sdwa v17, v32, v31 dst_sel:DWORD dst_unused:UNUSED_PAD src0_sel:WORD_1 src1_sel:DWORD
	ds_write2_b32 v1, v8, v13 offset0:64 offset1:160
	v_pack_b32_f16 v1, v9, v10
	s_waitcnt vmcnt(11)
	v_lshrrev_b32_e32 v10, 16, v33
	v_mul_f16_sdwa v8, v32, v12 dst_sel:DWORD dst_unused:UNUSED_PAD src0_sel:WORD_1 src1_sel:DWORD
	v_fmac_f16_e32 v16, v30, v29
	v_fma_f16 v9, v32, v12, -v17
	s_waitcnt vmcnt(9)
	v_mul_f16_sdwa v12, v35, v33 dst_sel:DWORD dst_unused:UNUSED_PAD src0_sel:WORD_1 src1_sel:DWORD
	ds_write2_b32 v5, v15, v1 offset0:128 offset1:224
	v_fmac_f16_e32 v8, v32, v31
	v_mul_f16_sdwa v5, v35, v10 dst_sel:DWORD dst_unused:UNUSED_PAD src0_sel:WORD_1 src1_sel:DWORD
	v_pack_b32_f16 v1, v16, v11
	v_fma_f16 v10, v35, v10, -v12
	v_lshrrev_b32_e32 v11, 16, v34
	s_waitcnt vmcnt(8)
	v_mul_f16_sdwa v12, v36, v34 dst_sel:DWORD dst_unused:UNUSED_PAD src0_sel:WORD_1 src1_sel:DWORD
	v_pack_b32_f16 v8, v8, v9
	v_fmac_f16_e32 v5, v35, v33
	s_waitcnt vmcnt(7)
	v_lshrrev_b32_e32 v9, 16, v37
	v_mul_f16_sdwa v13, v36, v11 dst_sel:DWORD dst_unused:UNUSED_PAD src0_sel:WORD_1 src1_sel:DWORD
	v_fma_f16 v11, v36, v11, -v12
	s_waitcnt vmcnt(6)
	v_mul_f16_sdwa v12, v6, v37 dst_sel:DWORD dst_unused:UNUSED_PAD src0_sel:WORD_1 src1_sel:DWORD
	v_pack_b32_f16 v5, v5, v10
	v_mul_f16_sdwa v10, v6, v9 dst_sel:DWORD dst_unused:UNUSED_PAD src0_sel:WORD_1 src1_sel:DWORD
	s_waitcnt vmcnt(5)
	v_lshrrev_b32_e32 v15, 16, v7
	s_waitcnt vmcnt(2)
	v_lshrrev_b32_e32 v17, 16, v2
	v_fma_f16 v9, v6, v9, -v12
	v_mul_f16_sdwa v12, v18, v7 dst_sel:DWORD dst_unused:UNUSED_PAD src0_sel:WORD_1 src1_sel:DWORD
	v_fmac_f16_e32 v10, v6, v37
	v_lshrrev_b32_e32 v6, 16, v4
	v_mul_f16_sdwa v16, v18, v15 dst_sel:DWORD dst_unused:UNUSED_PAD src0_sel:WORD_1 src1_sel:DWORD
	s_waitcnt vmcnt(0)
	v_mul_f16_sdwa v21, v0, v2 dst_sel:DWORD dst_unused:UNUSED_PAD src0_sel:WORD_1 src1_sel:DWORD
	v_fma_f16 v12, v18, v15, -v12
	v_mul_f16_sdwa v15, v3, v4 dst_sel:DWORD dst_unused:UNUSED_PAD src0_sel:WORD_1 src1_sel:DWORD
	v_mul_f16_sdwa v20, v3, v6 dst_sel:DWORD dst_unused:UNUSED_PAD src0_sel:WORD_1 src1_sel:DWORD
	v_mul_f16_sdwa v22, v0, v17 dst_sel:DWORD dst_unused:UNUSED_PAD src0_sel:WORD_1 src1_sel:DWORD
	v_fmac_f16_e32 v13, v36, v34
	v_fmac_f16_e32 v16, v18, v7
	v_fma_f16 v6, v3, v6, -v15
	v_fmac_f16_e32 v20, v3, v4
	v_fma_f16 v3, v0, v17, -v21
	v_fmac_f16_e32 v22, v0, v2
	v_pack_b32_f16 v28, v58, v50
	v_pack_b32_f16 v0, v13, v11
	;; [unrolled: 1-line block ×8, first 2 shown]
	ds_write2_b32 v19, v1, v8 offset0:64 offset1:160
	ds_write2_b32 v38, v28, v5 offset1:96
	ds_write2_b32 v39, v0, v2 offset0:64 offset1:160
	ds_write2_b32 v40, v42, v4 offset0:128 offset1:224
	;; [unrolled: 1-line block ×3, first 2 shown]
	ds_write_b32 v44, v49 offset:6144
.LBB0_3:
	s_or_b32 exec_lo, exec_lo, s1
	s_clause 0x1
	s_load_dwordx2 s[0:1], s[4:5], 0x20
	s_load_dwordx2 s[2:3], s[4:5], 0x8
	v_mov_b32_e32 v4, 0
	s_waitcnt lgkmcnt(0)
	s_barrier
	buffer_gl0_inv
                                        ; implicit-def: $vgpr17
                                        ; implicit-def: $vgpr1
                                        ; implicit-def: $vgpr3
                                        ; implicit-def: $vgpr7
                                        ; implicit-def: $vgpr9
                                        ; implicit-def: $vgpr13
                                        ; implicit-def: $vgpr11
                                        ; implicit-def: $vgpr16
                                        ; implicit-def: $vgpr74
                                        ; kill: def $vgpr0 killed $sgpr0 killed $exec
	s_and_saveexec_b32 s4, vcc_lo
	s_cbranch_execz .LBB0_5
; %bb.4:
	v_add_nc_u32_e32 v0, 0x200, v44
	v_add_nc_u32_e32 v1, 0x400, v44
	;; [unrolled: 1-line block ×3, first 2 shown]
	ds_read2_b32 v[4:5], v44 offset1:96
	v_add_nc_u32_e32 v3, 0x1000, v44
	ds_read2_b32 v[15:16], v0 offset0:64 offset1:160
	ds_read2_b32 v[10:11], v1 offset0:128 offset1:224
	v_add_nc_u32_e32 v0, 0xc00, v44
	v_add_nc_u32_e32 v1, 0xe00, v44
	;; [unrolled: 1-line block ×3, first 2 shown]
	ds_read2_b32 v[12:13], v2 offset0:64 offset1:160
	ds_read2_b32 v[8:9], v0 offset1:96
	ds_read2_b32 v[6:7], v1 offset0:64 offset1:160
	ds_read2_b32 v[2:3], v3 offset0:128 offset1:224
	;; [unrolled: 1-line block ×3, first 2 shown]
	ds_read_b32 v17, v44 offset:6144
	s_waitcnt lgkmcnt(7)
	v_alignbit_b32 v74, v15, v15, 16
.LBB0_5:
	s_or_b32 exec_lo, exec_lo, s4
	s_waitcnt lgkmcnt(0)
	v_pk_add_f16 v15, v5, v17 neg_lo:[0,1] neg_hi:[0,1]
	v_mov_b32_e32 v63, 0xb5c8
	v_pk_add_f16 v22, v17, v5
	v_pk_add_f16 v18, v1, v74 op_sel:[1,0] op_sel_hi:[0,1]
	v_pk_add_f16 v23, v74, v1 op_sel:[1,0] op_sel_hi:[0,1] neg_lo:[0,1] neg_hi:[0,1]
	v_mov_b32_e32 v66, 0xb964
	v_mul_f16_sdwa v71, v15, v63 dst_sel:DWORD dst_unused:UNUSED_PAD src0_sel:WORD_1 src1_sel:DWORD
	v_lshrrev_b32_e32 v73, 16, v22
	v_lshrrev_b32_e32 v42, 16, v18
	v_mul_f16_e32 v72, 0xb5c8, v15
	v_mul_f16_sdwa v36, v23, v66 dst_sel:DWORD dst_unused:UNUSED_PAD src0_sel:WORD_1 src1_sel:DWORD
	v_fmamk_f16 v20, v22, 0x3b76, v71
	v_pk_add_f16 v19, v16, v0 neg_lo:[0,1] neg_hi:[0,1]
	v_mov_b32_e32 v70, 0xbb29
	v_fma_f16 v24, v73, 0x3b76, -v72
	v_fmamk_f16 v25, v42, 0x39e9, v36
	v_add_f16_e32 v20, v20, v4
	v_mul_f16_e32 v51, 0xb964, v23
	v_pk_add_f16 v21, v0, v16
	v_mul_f16_sdwa v37, v19, v70 dst_sel:DWORD dst_unused:UNUSED_PAD src0_sel:WORD_1 src1_sel:DWORD
	v_mov_b32_e32 v65, 0xbbf7
	v_add_f16_e32 v26, v25, v20
	v_pk_add_f16 v20, v10, v3 neg_lo:[0,1] neg_hi:[0,1]
	v_add_f16_sdwa v24, v24, v4 dst_sel:DWORD dst_unused:UNUSED_PAD src0_sel:DWORD src1_sel:WORD_1
	v_fma_f16 v27, v18, 0x39e9, -v51
	v_lshrrev_b32_e32 v52, 16, v21
	v_fmamk_f16 v28, v21, 0x3722, v37
	v_mul_f16_e32 v55, 0xbb29, v19
	v_pk_add_f16 v25, v3, v10
	v_mul_f16_sdwa v38, v20, v65 dst_sel:DWORD dst_unused:UNUSED_PAD src0_sel:WORD_1 src1_sel:DWORD
	v_add_f16_e32 v27, v27, v24
	v_add_f16_e32 v26, v28, v26
	v_fma_f16 v28, v52, 0x3722, -v55
	v_lshrrev_b32_e32 v56, 16, v25
	v_mul_f16_e32 v53, 0xbbf7, v20
	v_fmamk_f16 v30, v25, 0x2de8, v38
	v_pk_add_f16 v24, v11, v2 neg_lo:[0,1] neg_hi:[0,1]
	v_mov_b32_e32 v64, 0xbbb2
	v_pk_add_f16 v29, v2, v11
	v_add_f16_e32 v27, v28, v27
	v_add_f16_e32 v28, v30, v26
	v_fma_f16 v30, v56, 0x2de8, -v53
	v_mul_f16_sdwa v40, v24, v64 dst_sel:DWORD dst_unused:UNUSED_PAD src0_sel:WORD_1 src1_sel:DWORD
	v_pk_add_f16 v26, v12, v7 neg_lo:[0,1] neg_hi:[0,1]
	v_mov_b32_e32 v68, 0xba62
	v_lshrrev_b32_e32 v60, 16, v29
	v_mul_f16_e32 v59, 0xbbb2, v24
	v_pk_add_f16 v31, v7, v12
	v_add_f16_e32 v27, v30, v27
	v_fmamk_f16 v30, v29, 0xb461, v40
	v_mul_f16_sdwa v49, v26, v68 dst_sel:DWORD dst_unused:UNUSED_PAD src0_sel:WORD_1 src1_sel:DWORD
	v_fma_f16 v34, v60, 0xb461, -v59
	v_lshrrev_b32_e32 v61, 16, v31
	v_mul_f16_e32 v58, 0xba62, v26
	v_add_f16_e32 v28, v30, v28
	v_fmamk_f16 v30, v31, 0xb8d2, v49
	v_pk_add_f16 v32, v13, v6 neg_lo:[0,1] neg_hi:[0,1]
	v_mov_b32_e32 v69, 0xb836
	v_pk_add_f16 v33, v6, v13
	v_add_f16_e32 v27, v34, v27
	v_fma_f16 v35, v61, 0xb8d2, -v58
	v_add_f16_e32 v28, v30, v28
	v_mul_f16_sdwa v39, v32, v69 dst_sel:DWORD dst_unused:UNUSED_PAD src0_sel:WORD_1 src1_sel:DWORD
	v_lshrrev_b32_e32 v62, 16, v33
	v_mul_f16_e32 v54, 0xb836, v32
	v_pk_add_f16 v30, v8, v9 neg_lo:[0,1] neg_hi:[0,1]
	v_mov_b32_e32 v67, 0xb1e1
	v_pk_add_f16 v34, v9, v8
	v_add_f16_e32 v27, v35, v27
	v_fmamk_f16 v35, v33, 0xbacd, v39
	v_fma_f16 v75, v62, 0xbacd, -v54
	v_mul_f16_sdwa v41, v30, v67 dst_sel:DWORD dst_unused:UNUSED_PAD src0_sel:WORD_1 src1_sel:DWORD
	v_lshrrev_b32_e32 v57, 16, v34
	v_mul_f16_e32 v50, 0xb1e1, v30
	v_add_f16_e32 v28, v35, v28
	v_add_f16_e32 v35, v75, v27
	v_fmamk_f16 v27, v34, 0xbbdd, v41
	v_fma_f16 v75, v57, 0xbbdd, -v50
	s_barrier
	buffer_gl0_inv
	v_add_f16_e32 v27, v27, v28
	v_add_f16_e32 v28, v75, v35
	s_and_saveexec_b32 s4, vcc_lo
	s_cbranch_execz .LBB0_7
; %bb.6:
	v_alignbit_b32 v35, v4, v4, 16
	v_alignbit_b32 v74, v74, v74, 16
	v_mul_f16_e32 v75, 0x3b76, v22
	v_mul_f16_e32 v76, 0x3b76, v73
	v_mul_f16_sdwa v77, v15, v66 dst_sel:DWORD dst_unused:UNUSED_PAD src0_sel:WORD_1 src1_sel:DWORD
	v_pk_add_f16 v5, v5, v35 op_sel:[0,1] op_sel_hi:[1,0]
	v_mul_f16_e32 v78, 0x3722, v73
	v_mul_f16_e32 v79, 0x2de8, v73
	v_mul_f16_sdwa v80, v15, v65 dst_sel:DWORD dst_unused:UNUSED_PAD src0_sel:WORD_1 src1_sel:DWORD
	v_mul_f16_e32 v81, 0xb461, v73
	v_pk_add_f16 v5, v74, v5
	v_mul_f16_sdwa v74, v15, v64 dst_sel:DWORD dst_unused:UNUSED_PAD src0_sel:WORD_1 src1_sel:DWORD
	v_mul_f16_e32 v82, 0xb8d2, v73
	v_mul_f16_e32 v73, 0xbacd, v73
	v_mul_f16_sdwa v83, v15, v68 dst_sel:DWORD dst_unused:UNUSED_PAD src0_sel:WORD_1 src1_sel:DWORD
	v_pk_add_f16 v5, v16, v5
	v_mul_f16_sdwa v16, v15, v69 dst_sel:DWORD dst_unused:UNUSED_PAD src0_sel:WORD_1 src1_sel:DWORD
	v_fmamk_f16 v84, v22, 0x39e9, v77
	v_add_f16_e32 v88, v72, v76
	v_fmamk_f16 v72, v22, 0xb461, v74
	v_pk_add_f16 v5, v10, v5
	v_fmamk_f16 v10, v22, 0x2de8, v80
	v_add_f16_e32 v84, v84, v4
	v_fmamk_f16 v85, v15, 0x3b29, v78
	v_fmamk_f16 v86, v15, 0x3bf7, v79
	v_pk_add_f16 v5, v11, v5
	v_sub_f16_e32 v11, v75, v71
	v_fmamk_f16 v71, v15, 0x3836, v73
	v_add_f16_e32 v89, v10, v4
	v_fma_f16 v10, v22, 0x39e9, -v77
	v_pk_add_f16 v5, v12, v5
	v_fmamk_f16 v87, v15, 0x3bb2, v81
	v_add_f16_sdwa v93, v71, v4 dst_sel:DWORD dst_unused:UNUSED_PAD src0_sel:DWORD src1_sel:WORD_1
	v_mul_f16_sdwa v71, v19, v68 dst_sel:DWORD dst_unused:UNUSED_PAD src0_sel:WORD_1 src1_sel:DWORD
	v_fmac_f16_e32 v73, 0xb836, v15
	v_pk_add_f16 v5, v13, v5
	v_mul_f16_sdwa v13, v23, v65 dst_sel:DWORD dst_unused:UNUSED_PAD src0_sel:WORD_1 src1_sel:DWORD
	v_fmamk_f16 v75, v15, 0x3a62, v82
	v_fmamk_f16 v12, v22, 0xb8d2, v83
	;; [unrolled: 1-line block ×3, first 2 shown]
	v_pk_add_f16 v5, v8, v5
	v_fma_f16 v8, v22, 0xbacd, -v16
	v_add_f16_e32 v90, v72, v4
	v_fmac_f16_e32 v82, 0xba62, v15
	v_fmac_f16_e32 v81, 0xbbb2, v15
	v_pk_add_f16 v5, v9, v5
	v_fma_f16 v9, v22, 0xb8d2, -v83
	v_add_f16_e32 v95, v8, v4
	v_fma_f16 v8, v22, 0xb461, -v74
	v_fmac_f16_e32 v79, 0xbbf7, v15
	v_fmac_f16_e32 v78, 0xbb29, v15
	v_add_f16_e32 v96, v9, v4
	v_fma_f16 v9, v22, 0x2de8, -v80
	v_add_f16_e32 v80, v8, v4
	v_fmamk_f16 v8, v42, 0x2de8, v13
	v_add_f16_e32 v72, v10, v4
	v_fmamk_f16 v10, v21, 0xb8d2, v71
	v_mul_f16_sdwa v16, v20, v67 dst_sel:DWORD dst_unused:UNUSED_PAD src0_sel:WORD_1 src1_sel:DWORD
	v_add_f16_sdwa v85, v85, v4 dst_sel:DWORD dst_unused:UNUSED_PAD src0_sel:DWORD src1_sel:WORD_1
	v_add_f16_e32 v8, v8, v84
	v_add_f16_sdwa v86, v86, v4 dst_sel:DWORD dst_unused:UNUSED_PAD src0_sel:DWORD src1_sel:WORD_1
	v_add_f16_sdwa v87, v87, v4 dst_sel:DWORD dst_unused:UNUSED_PAD src0_sel:DWORD src1_sel:WORD_1
	;; [unrolled: 1-line block ×3, first 2 shown]
	v_add_f16_e32 v92, v12, v4
	v_add_f16_e32 v94, v76, v4
	v_add_f16_sdwa v83, v73, v4 dst_sel:DWORD dst_unused:UNUSED_PAD src0_sel:DWORD src1_sel:WORD_1
	v_add_f16_sdwa v82, v82, v4 dst_sel:DWORD dst_unused:UNUSED_PAD src0_sel:DWORD src1_sel:WORD_1
	;; [unrolled: 1-line block ×4, first 2 shown]
	v_add_f16_e32 v77, v9, v4
	v_add_f16_sdwa v76, v78, v4 dst_sel:DWORD dst_unused:UNUSED_PAD src0_sel:DWORD src1_sel:WORD_1
	v_add_f16_sdwa v12, v88, v4 dst_sel:DWORD dst_unused:UNUSED_PAD src0_sel:DWORD src1_sel:WORD_1
	v_add_f16_e32 v9, v11, v4
	v_pk_add_f16 v4, v6, v5
	v_mov_b32_e32 v11, 0x3836
	v_add_f16_e32 v5, v10, v8
	v_fmamk_f16 v6, v25, 0xbbdd, v16
	v_mul_f16_e32 v78, 0xb8d2, v18
	v_pk_add_f16 v7, v7, v4
	v_mul_f16_sdwa v75, v24, v11 dst_sel:DWORD dst_unused:UNUSED_PAD src0_sel:WORD_1 src1_sel:DWORD
	v_mov_b32_e32 v84, 0x3bb2
	v_add_f16_e32 v4, v6, v5
	v_fmamk_f16 v5, v23, 0x3a62, v78
	v_mul_f16_e32 v88, 0xbbdd, v52
	v_fmamk_f16 v6, v29, 0xbacd, v75
	v_mul_f16_sdwa v74, v26, v84 dst_sel:DWORD dst_unused:UNUSED_PAD src0_sel:WORD_1 src1_sel:DWORD
	v_mov_b32_e32 v97, 0x3b29
	v_add_f16_e32 v5, v5, v85
	v_fmamk_f16 v8, v19, 0xb1e1, v88
	v_mul_f16_e32 v85, 0xb461, v56
	v_add_f16_e32 v4, v6, v4
	v_fmamk_f16 v6, v31, 0xb461, v74
	v_mul_f16_sdwa v73, v32, v97 dst_sel:DWORD dst_unused:UNUSED_PAD src0_sel:WORD_1 src1_sel:DWORD
	v_add_f16_e32 v5, v8, v5
	v_fmamk_f16 v8, v20, 0xbbb2, v85
	v_mul_f16_e32 v98, 0x39e9, v60
	v_mov_b32_e32 v99, 0x35c8
	v_add_f16_e32 v4, v6, v4
	v_fmamk_f16 v6, v33, 0x3722, v73
	v_add_f16_e32 v5, v8, v5
	v_fmamk_f16 v8, v24, 0xb964, v98
	v_mul_f16_e32 v100, 0x3b76, v61
	v_mul_f16_e32 v101, 0xbbdd, v18
	v_mul_f16_sdwa v10, v30, v99 dst_sel:DWORD dst_unused:UNUSED_PAD src0_sel:WORD_1 src1_sel:DWORD
	v_add_f16_e32 v4, v6, v4
	v_add_f16_e32 v5, v8, v5
	v_fmamk_f16 v6, v26, 0x35c8, v100
	v_mul_f16_e32 v102, 0x2de8, v62
	v_fmamk_f16 v8, v23, 0x31e1, v101
	v_mul_f16_e32 v103, 0xb461, v52
	v_fmamk_f16 v104, v34, 0x3b76, v10
	v_add_f16_e32 v5, v6, v5
	v_fmamk_f16 v6, v32, 0x3bf7, v102
	v_add_f16_e32 v8, v8, v86
	v_fmamk_f16 v86, v19, 0xbbb2, v103
	v_mul_f16_e32 v105, 0x3b76, v56
	v_add_f16_e32 v4, v104, v4
	v_mul_f16_sdwa v104, v23, v67 dst_sel:DWORD dst_unused:UNUSED_PAD src0_sel:WORD_1 src1_sel:DWORD
	v_mul_f16_e32 v106, 0xbacd, v57
	v_add_f16_e32 v5, v6, v5
	v_add_f16_e32 v6, v86, v8
	v_fmamk_f16 v8, v20, 0xb5c8, v105
	v_mul_f16_e32 v86, 0x3722, v60
	v_fmamk_f16 v107, v42, 0xbbdd, v104
	v_mul_f16_sdwa v108, v19, v84 dst_sel:DWORD dst_unused:UNUSED_PAD src0_sel:WORD_1 src1_sel:DWORD
	v_fmamk_f16 v110, v30, 0x3836, v106
	v_add_f16_e32 v6, v8, v6
	v_fmamk_f16 v8, v24, 0x3b29, v86
	v_mul_f16_e32 v109, 0xbacd, v61
	v_add_f16_e32 v89, v107, v89
	v_fmamk_f16 v107, v21, 0xb461, v108
	v_mul_f16_sdwa v99, v20, v99 dst_sel:DWORD dst_unused:UNUSED_PAD src0_sel:WORD_1 src1_sel:DWORD
	v_add_f16_e32 v5, v110, v5
	v_mul_f16_e32 v110, 0xbacd, v18
	v_add_f16_e32 v6, v8, v6
	v_fmamk_f16 v8, v26, 0x3836, v109
	v_add_f16_e32 v89, v107, v89
	v_fmamk_f16 v107, v25, 0x3b76, v99
	v_mul_f16_sdwa v111, v24, v70 dst_sel:DWORD dst_unused:UNUSED_PAD src0_sel:WORD_1 src1_sel:DWORD
	v_fmamk_f16 v113, v23, 0xb836, v110
	v_mul_f16_e32 v114, 0x39e9, v52
	v_add_f16_e32 v6, v8, v6
	v_add_f16_e32 v8, v107, v89
	v_fmamk_f16 v89, v29, 0x3722, v111
	v_mul_f16_sdwa v107, v26, v69 dst_sel:DWORD dst_unused:UNUSED_PAD src0_sel:WORD_1 src1_sel:DWORD
	v_mov_b32_e32 v112, 0x3a62
	v_add_f16_e32 v87, v113, v87
	v_fmamk_f16 v113, v19, 0xb964, v114
	v_mul_f16_e32 v116, 0x3722, v56
	v_add_f16_e32 v8, v89, v8
	v_fmamk_f16 v89, v31, 0xbacd, v107
	v_mul_f16_sdwa v115, v32, v112 dst_sel:DWORD dst_unused:UNUSED_PAD src0_sel:WORD_1 src1_sel:DWORD
	v_add_f16_e32 v87, v113, v87
	v_fmamk_f16 v113, v20, 0x3b29, v116
	v_mul_f16_e32 v118, 0xbbdd, v60
	v_add_f16_e32 v8, v89, v8
	v_fmamk_f16 v89, v33, 0xb8d2, v115
	v_mov_b32_e32 v117, 0x3964
	v_mul_f16_sdwa v119, v23, v11 dst_sel:DWORD dst_unused:UNUSED_PAD src0_sel:WORD_1 src1_sel:DWORD
	v_add_f16_e32 v11, v113, v87
	v_fmamk_f16 v87, v24, 0x31e1, v118
	v_mul_f16_e32 v113, 0x2de8, v61
	v_add_f16_e32 v8, v89, v8
	v_mul_f16_sdwa v89, v30, v117 dst_sel:DWORD dst_unused:UNUSED_PAD src0_sel:WORD_1 src1_sel:DWORD
	v_fmamk_f16 v121, v42, 0xbacd, v119
	v_mul_f16_sdwa v122, v19, v117 dst_sel:DWORD dst_unused:UNUSED_PAD src0_sel:WORD_1 src1_sel:DWORD
	v_add_f16_e32 v11, v87, v11
	v_fmamk_f16 v87, v26, 0xbbf7, v113
	v_mul_f16_e32 v123, 0x3b76, v62
	v_fmamk_f16 v120, v34, 0x39e9, v89
	v_add_f16_e32 v90, v121, v90
	v_fmamk_f16 v121, v21, 0x39e9, v122
	v_mul_f16_sdwa v70, v20, v70 dst_sel:DWORD dst_unused:UNUSED_PAD src0_sel:WORD_1 src1_sel:DWORD
	v_add_f16_e32 v11, v87, v11
	v_fmamk_f16 v87, v32, 0x35c8, v123
	v_add_f16_e32 v8, v120, v8
	v_add_f16_e32 v90, v121, v90
	v_fmamk_f16 v120, v25, 0x3722, v70
	v_mul_f16_sdwa v121, v24, v67 dst_sel:DWORD dst_unused:UNUSED_PAD src0_sel:WORD_1 src1_sel:DWORD
	v_mov_b32_e32 v124, 0x3bf7
	v_add_f16_e32 v11, v87, v11
	v_mul_f16_e32 v87, 0xb461, v18
	v_add_f16_e32 v90, v120, v90
	v_fmamk_f16 v120, v29, 0xbbdd, v121
	v_mul_f16_sdwa v125, v26, v124 dst_sel:DWORD dst_unused:UNUSED_PAD src0_sel:WORD_1 src1_sel:DWORD
	v_mul_f16_e32 v128, 0x3b76, v52
	v_fmamk_f16 v127, v23, 0xbbb2, v87
	v_mul_f16_e32 v126, 0xb8d2, v57
	v_add_f16_e32 v90, v120, v90
	v_fmamk_f16 v120, v31, 0x2de8, v125
	v_mul_f16_sdwa v129, v32, v63 dst_sel:DWORD dst_unused:UNUSED_PAD src0_sel:WORD_1 src1_sel:DWORD
	v_add_f16_e32 v91, v127, v91
	v_fmamk_f16 v127, v19, 0x35c8, v128
	v_mul_f16_e32 v130, 0xbacd, v56
	v_fmamk_f16 v131, v30, 0x3a62, v126
	v_add_f16_e32 v90, v120, v90
	v_fmamk_f16 v120, v33, 0x3b76, v129
	v_add_f16_e32 v91, v127, v91
	v_fmamk_f16 v127, v20, 0x3836, v130
	v_mul_f16_e32 v132, 0x2de8, v60
	v_mul_f16_sdwa v84, v23, v84 dst_sel:DWORD dst_unused:UNUSED_PAD src0_sel:WORD_1 src1_sel:DWORD
	v_add_f16_e32 v11, v131, v11
	v_add_f16_e32 v90, v120, v90
	;; [unrolled: 1-line block ×3, first 2 shown]
	v_fmamk_f16 v120, v24, 0xbbf7, v132
	v_mul_f16_e32 v127, 0x39e9, v61
	v_mul_f16_sdwa v131, v30, v68 dst_sel:DWORD dst_unused:UNUSED_PAD src0_sel:WORD_1 src1_sel:DWORD
	v_fmamk_f16 v68, v42, 0xb461, v84
	v_mul_f16_sdwa v133, v19, v63 dst_sel:DWORD dst_unused:UNUSED_PAD src0_sel:WORD_1 src1_sel:DWORD
	v_add_f16_e32 v91, v120, v91
	v_fmamk_f16 v120, v26, 0x3964, v127
	v_mul_f16_e32 v134, 0xbbdd, v62
	v_add_f16_e32 v68, v68, v92
	v_fmamk_f16 v92, v21, 0x3b76, v133
	v_mul_f16_sdwa v69, v20, v69 dst_sel:DWORD dst_unused:UNUSED_PAD src0_sel:WORD_1 src1_sel:DWORD
	v_fmamk_f16 v135, v34, 0xb8d2, v131
	v_add_f16_e32 v91, v120, v91
	v_fmamk_f16 v120, v32, 0x31e1, v134
	v_add_f16_e32 v92, v92, v68
	v_fmamk_f16 v136, v25, 0xbacd, v69
	v_mul_f16_sdwa v124, v24, v124 dst_sel:DWORD dst_unused:UNUSED_PAD src0_sel:WORD_1 src1_sel:DWORD
	v_add_f16_e32 v68, v135, v90
	v_add_f16_e32 v90, v120, v91
	v_mul_f16_e32 v91, 0x3722, v18
	v_add_f16_e32 v92, v136, v92
	v_fmamk_f16 v120, v29, 0x2de8, v124
	v_mul_f16_sdwa v66, v26, v66 dst_sel:DWORD dst_unused:UNUSED_PAD src0_sel:WORD_1 src1_sel:DWORD
	v_mul_f16_e32 v137, 0x2de8, v52
	v_fmamk_f16 v136, v23, 0xbb29, v91
	v_mul_f16_sdwa v138, v32, v67 dst_sel:DWORD dst_unused:UNUSED_PAD src0_sel:WORD_1 src1_sel:DWORD
	v_add_f16_e32 v92, v120, v92
	v_fmamk_f16 v120, v31, 0x39e9, v66
	v_mul_f16_e32 v135, 0x3722, v57
	v_add_f16_e32 v93, v136, v93
	v_fmamk_f16 v136, v19, 0x3bf7, v137
	v_mul_f16_e32 v139, 0xb8d2, v56
	v_add_f16_e32 v92, v120, v92
	v_fmamk_f16 v120, v33, 0xbbdd, v138
	v_fmamk_f16 v140, v30, 0xbb29, v135
	v_add_f16_e32 v93, v136, v93
	v_fmamk_f16 v136, v20, 0xba62, v139
	v_mul_f16_e32 v141, 0x3b76, v60
	v_add_f16_e32 v92, v120, v92
	v_mul_f16_sdwa v120, v23, v97 dst_sel:DWORD dst_unused:UNUSED_PAD src0_sel:WORD_1 src1_sel:DWORD
	v_add_f16_e32 v90, v140, v90
	v_add_f16_e32 v93, v136, v93
	v_fmamk_f16 v136, v24, 0x35c8, v141
	v_mul_f16_e32 v140, 0xbbdd, v61
	v_fmamk_f16 v142, v42, 0x3722, v120
	v_mul_f16_sdwa v65, v19, v65 dst_sel:DWORD dst_unused:UNUSED_PAD src0_sel:WORD_1 src1_sel:DWORD
	v_fma_f16 v120, v42, 0x3722, -v120
	v_add_f16_e32 v93, v136, v93
	v_fmamk_f16 v136, v26, 0x31e1, v140
	v_mul_f16_e32 v143, 0x39e9, v62
	v_add_f16_e32 v94, v142, v94
	v_fmamk_f16 v142, v21, 0x2de8, v65
	v_mul_f16_sdwa v112, v20, v112 dst_sel:DWORD dst_unused:UNUSED_PAD src0_sel:WORD_1 src1_sel:DWORD
	v_add_f16_e32 v95, v120, v95
	v_fma_f16 v65, v21, 0x2de8, -v65
	v_fmac_f16_e32 v87, 0x3bb2, v23
	v_add_f16_e32 v93, v136, v93
	v_fmamk_f16 v136, v32, 0xb964, v143
	v_add_f16_e32 v94, v142, v94
	v_fmamk_f16 v142, v25, 0xb8d2, v112
	v_mul_f16_sdwa v63, v24, v63 dst_sel:DWORD dst_unused:UNUSED_PAD src0_sel:WORD_1 src1_sel:DWORD
	v_add_f16_e32 v65, v65, v95
	v_fma_f16 v95, v25, 0xb8d2, -v112
	v_add_f16_e32 v82, v87, v82
	v_fmac_f16_e32 v128, 0xb5c8, v19
	v_add_f16_e32 v93, v136, v93
	v_add_f16_e32 v94, v142, v94
	v_fmamk_f16 v136, v29, 0x3b76, v63
	v_mul_f16_sdwa v67, v26, v67 dst_sel:DWORD dst_unused:UNUSED_PAD src0_sel:WORD_1 src1_sel:DWORD
	v_add_f16_e32 v65, v95, v65
	v_fma_f16 v63, v29, 0x3b76, -v63
	v_add_f16_e32 v82, v128, v82
	v_fmac_f16_e32 v130, 0xb836, v20
	v_fma_f16 v84, v42, 0xb461, -v84
	v_add_f16_e32 v94, v136, v94
	v_fmamk_f16 v136, v31, 0xbbdd, v67
	v_mul_f16_sdwa v117, v32, v117 dst_sel:DWORD dst_unused:UNUSED_PAD src0_sel:WORD_1 src1_sel:DWORD
	v_add_f16_e32 v63, v63, v65
	v_fma_f16 v65, v31, 0xbbdd, -v67
	v_add_f16_e32 v67, v130, v82
	v_fmac_f16_e32 v132, 0x3bf7, v24
	v_add_f16_e32 v82, v84, v96
	v_fma_f16 v84, v21, 0x3b76, -v133
	v_add_f16_e32 v94, v136, v94
	v_fmamk_f16 v136, v33, 0x39e9, v117
	v_mul_f16_sdwa v64, v30, v64 dst_sel:DWORD dst_unused:UNUSED_PAD src0_sel:WORD_1 src1_sel:DWORD
	v_add_f16_e32 v63, v65, v63
	v_fma_f16 v65, v33, 0x39e9, -v117
	v_add_f16_e32 v67, v132, v67
	v_fmac_f16_e32 v127, 0xb964, v26
	v_add_f16_e32 v82, v84, v82
	v_fma_f16 v69, v25, 0xbacd, -v69
	v_fma_f16 v13, v42, 0x2de8, -v13
	v_add_f16_e32 v94, v136, v94
	v_fmamk_f16 v136, v34, 0xb461, v64
	v_add_f16_e32 v63, v65, v63
	v_fma_f16 v64, v34, 0xb461, -v64
	v_add_f16_e32 v65, v127, v67
	v_fmac_f16_e32 v134, 0xb1e1, v32
	v_add_f16_e32 v67, v69, v82
	v_fma_f16 v69, v29, 0x2de8, -v124
	v_fmac_f16_e32 v110, 0x3836, v23
	v_add_f16_e32 v13, v13, v72
	v_fma_f16 v71, v21, 0xb8d2, -v71
	v_add_f16_e32 v63, v64, v63
	v_add_f16_e32 v64, v134, v65
	;; [unrolled: 1-line block ×3, first 2 shown]
	v_fma_f16 v66, v31, 0x39e9, -v66
	v_add_f16_e32 v67, v110, v81
	v_fmac_f16_e32 v114, 0x3964, v19
	v_fma_f16 v69, v42, 0xbacd, -v119
	v_add_f16_e32 v13, v71, v13
	v_mul_f16_e32 v71, 0x39e9, v18
	v_fma_f16 v16, v25, 0xbbdd, -v16
	v_mul_f16_sdwa v97, v30, v97 dst_sel:DWORD dst_unused:UNUSED_PAD src0_sel:WORD_1 src1_sel:DWORD
	v_add_f16_e32 v65, v66, v65
	v_fma_f16 v66, v33, 0xbbdd, -v138
	v_add_f16_e32 v67, v114, v67
	v_fmac_f16_e32 v116, 0xbb29, v20
	v_add_f16_e32 v69, v69, v80
	v_fma_f16 v80, v21, 0x39e9, -v122
	v_add_f16_e32 v51, v51, v71
	v_add_f16_e32 v13, v16, v13
	v_mul_f16_e32 v16, 0x3722, v52
	v_add_f16_e32 v65, v66, v65
	v_fma_f16 v66, v34, 0x3722, -v97
	v_add_f16_e32 v67, v116, v67
	v_fmac_f16_e32 v118, 0xb1e1, v24
	v_add_f16_e32 v69, v80, v69
	v_fma_f16 v70, v25, 0x3722, -v70
	v_fmac_f16_e32 v101, 0xb1e1, v23
	v_fma_f16 v52, v29, 0xbacd, -v75
	v_add_f16_e32 v12, v51, v12
	v_add_f16_e32 v16, v55, v16
	v_mul_f16_e32 v56, 0x2de8, v56
	v_add_f16_e32 v65, v66, v65
	v_add_f16_e32 v66, v118, v67
	;; [unrolled: 1-line block ×3, first 2 shown]
	v_fma_f16 v69, v29, 0xbbdd, -v121
	v_add_f16_e32 v70, v101, v79
	v_fmac_f16_e32 v103, 0x3bb2, v19
	v_fma_f16 v79, v42, 0xbbdd, -v104
	v_mul_f16_e32 v42, 0x39e9, v42
	v_add_f16_e32 v13, v52, v13
	v_mul_f16_e32 v60, 0xb461, v60
	v_add_f16_e32 v12, v16, v12
	v_fma_f16 v71, v31, 0xb461, -v74
	v_add_f16_e32 v53, v53, v56
	v_add_f16_e32 v67, v69, v67
	v_fma_f16 v69, v31, 0x2de8, -v125
	v_add_f16_e32 v70, v103, v70
	v_fmac_f16_e32 v105, 0x35c8, v20
	v_mul_f16_e32 v51, 0x3722, v21
	v_mul_f16_e32 v61, 0xb8d2, v61
	v_add_f16_e32 v13, v71, v13
	v_pk_mul_f16 v71, 0x39e93722, v22
	v_add_f16_e32 v12, v53, v12
	v_add_f16_e32 v59, v59, v60
	v_sub_f16_e32 v36, v42, v36
	v_add_f16_e32 v67, v69, v67
	v_fma_f16 v69, v33, 0x3b76, -v129
	v_add_f16_e32 v70, v105, v70
	v_fmac_f16_e32 v86, 0xbb29, v24
	v_mul_f16_e32 v55, 0x2de8, v25
	v_pk_mul_f16 v53, 0xba62bbf7, v23
	v_fma_f16 v73, v33, 0x3722, -v73
	v_pk_fma_f16 v60, 0xbb29b964, v15, v71 op_sel:[0,0,1] op_sel_hi:[1,1,0] neg_lo:[0,1,0] neg_hi:[0,1,0]
	v_add_f16_e32 v12, v59, v12
	v_add_f16_e32 v58, v58, v61
	;; [unrolled: 1-line block ×3, first 2 shown]
	v_pk_fma_f16 v71, 0xbb29b964, v15, v71 op_sel:[0,0,1] op_sel_hi:[1,1,0]
	v_sub_f16_e32 v37, v51, v37
	v_add_f16_e32 v67, v69, v67
	v_fma_f16 v69, v34, 0xb8d2, -v131
	v_add_f16_e32 v70, v86, v70
	v_fmac_f16_e32 v109, 0xb836, v26
	v_mul_f16_e32 v52, 0xb461, v29
	v_pk_fma_f16 v75, 0xb8d22de8, v18, v53 neg_lo:[0,0,1] neg_hi:[0,0,1]
	v_add_f16_e32 v13, v73, v13
	v_pk_mul_f16 v73, 0xb8d2bbdd, v21
	v_add_f16_e32 v59, v60, v35
	v_add_f16_e32 v12, v58, v12
	v_pk_add_f16 v58, v71, v35
	v_pk_fma_f16 v53, 0xb8d22de8, v18, v53
	v_add_f16_e32 v9, v37, v9
	v_sub_f16_e32 v38, v55, v38
	v_bfi_b32 v60, 0xffff, v71, v60
	v_add_f16_e32 v67, v69, v67
	v_fmac_f16_e32 v78, 0xba62, v23
	v_add_f16_e32 v69, v109, v70
	v_mul_f16_e32 v70, 0xb8d2, v62
	v_mul_f16_e32 v16, 0xb8d2, v31
	v_pk_mul_f16 v42, 0xbbddb461, v25
	v_pk_fma_f16 v61, 0x31e1ba62, v19, v73 op_sel:[0,0,1] op_sel_hi:[1,1,0] neg_lo:[0,1,0] neg_hi:[0,1,0]
	v_pk_add_f16 v58, v53, v58
	v_pk_fma_f16 v73, 0x31e1ba62, v19, v73 op_sel:[0,0,1] op_sel_hi:[1,1,0]
	v_add_f16_e32 v9, v38, v9
	v_sub_f16_e32 v40, v52, v40
	v_pk_add_f16 v60, v60, v35
	v_bfi_b32 v53, 0xffff, v53, v75
	v_fmac_f16_e32 v91, 0x3b29, v23
	v_add_f16_e32 v76, v78, v76
	v_fmamk_f16 v78, v32, 0xba62, v70
	v_fmac_f16_e32 v70, 0x3a62, v32
	v_mul_f16_e32 v56, 0xbacd, v33
	v_mul_f16_e32 v62, 0xbacd, v62
	v_add_f16_e32 v59, v75, v59
	v_pk_fma_f16 v36, 0x3bb2b1e1, v20, v42 op_sel:[0,0,1] op_sel_hi:[1,1,0] neg_lo:[0,1,0] neg_hi:[0,1,0]
	v_pk_mul_f16 v51, 0xbacd39e9, v29
	v_pk_fma_f16 v42, 0x3bb2b1e1, v20, v42 op_sel:[0,0,1] op_sel_hi:[1,1,0]
	v_add_f16_e32 v9, v40, v9
	v_sub_f16_e32 v16, v16, v49
	v_pk_add_f16 v2, v2, v7
	v_pk_add_f16 v7, v53, v60
	v_bfi_b32 v53, 0xffff, v73, v61
	v_add_f16_e32 v83, v91, v83
	v_mul_f16_e32 v91, 0xb461, v57
	v_add_f16_e32 v69, v70, v69
	v_mul_f16_e32 v70, 0x39e9, v57
	v_add_f16_e32 v59, v61, v59
	v_pk_fma_f16 v37, 0x39643836, v24, v51 op_sel:[0,0,1] op_sel_hi:[1,1,0] neg_lo:[0,1,0] neg_hi:[0,1,0]
	v_pk_mul_f16 v55, 0xb4613b76, v31
	v_pk_fma_f16 v51, 0x39643836, v24, v51 op_sel:[0,0,1] op_sel_hi:[1,1,0]
	v_add_f16_e32 v54, v54, v62
	v_mul_f16_e32 v62, 0xbbdd, v34
	v_add_f16_e32 v9, v16, v9
	v_mul_f16_e32 v57, 0xbbdd, v57
	v_sub_f16_e32 v39, v56, v39
	v_pk_add_f16 v2, v3, v2
	v_pk_add_f16 v3, v53, v7
	v_bfi_b32 v7, 0xffff, v42, v36
	v_fmac_f16_e32 v88, 0x31e1, v19
	v_add_f16_e32 v59, v36, v59
	v_pk_fma_f16 v38, 0xb5c83bb2, v26, v55 op_sel:[0,0,1] op_sel_hi:[1,1,0] neg_lo:[0,1,0] neg_hi:[0,1,0]
	v_pk_mul_f16 v52, 0x37222de8, v33
	v_pk_fma_f16 v55, 0xb5c83bb2, v26, v55 op_sel:[0,0,1] op_sel_hi:[1,1,0]
	v_add_f16_e32 v12, v54, v12
	v_add_f16_e32 v50, v50, v57
	;; [unrolled: 1-line block ×3, first 2 shown]
	v_sub_f16_e32 v36, v62, v41
	v_pk_add_f16 v0, v0, v2
	v_pk_add_f16 v3, v7, v3
	v_bfi_b32 v7, 0xffff, v51, v37
	v_add_f16_e32 v76, v88, v76
	v_fmac_f16_e32 v85, 0x3bb2, v20
	v_pk_fma_f16 v40, 0xbbf73b29, v32, v52 op_sel:[0,0,1] op_sel_hi:[1,1,0] neg_lo:[0,1,0] neg_hi:[0,1,0]
	v_pk_fma_f16 v52, 0xbbf73b29, v32, v52 op_sel:[0,0,1] op_sel_hi:[1,1,0]
	v_fma_f16 v10, v34, 0x3b76, -v10
	v_mul_lo_u16 v39, v48, 17
	v_mov_b32_e32 v2, 2
	v_add_f16_e32 v12, v50, v12
	v_pk_add_f16 v0, v1, v0
	v_add_f16_e32 v1, v36, v9
	v_pk_add_f16 v3, v7, v3
	v_bfi_b32 v7, 0xffff, v55, v38
	v_add_f16_e32 v76, v85, v76
	v_fmac_f16_e32 v98, 0x3964, v24
	v_pk_mul_f16 v49, 0x3b76bacd, v34
	v_lshlrev_b32_sdwa v2, v2, v39 dst_sel:DWORD dst_unused:UNUSED_PAD src0_sel:DWORD src1_sel:WORD_0
	v_pk_add_f16 v0, v17, v0
	v_pack_b32_f16 v1, v1, v12
	v_add_f16_e32 v9, v10, v13
	v_pk_mul_f16 v10, 0xbbdd, v22 op_sel_hi:[0,1]
	v_pk_add_f16 v3, v7, v3
	v_bfi_b32 v7, 0xffff, v52, v40
	v_add_f16_e32 v76, v98, v76
	v_fmac_f16_e32 v100, 0xb5c8, v26
	v_pk_fma_f16 v16, 0xb83635c8, v30, v49 op_sel:[0,0,1] op_sel_hi:[1,1,0] neg_lo:[0,1,0] neg_hi:[0,1,0]
	ds_write2_b32 v2, v0, v1 offset1:1
	v_pk_fma_f16 v0, 0xb83635c8, v30, v49 op_sel:[0,0,1] op_sel_hi:[1,1,0]
	v_pk_fma_f16 v1, 0xb1e1, v15, v10 op_sel:[0,0,1] op_sel_hi:[0,1,0] neg_lo:[0,1,0] neg_hi:[0,1,0]
	v_pk_mul_f16 v12, 0x35c8, v23 op_sel_hi:[0,1]
	v_pk_add_f16 v3, v7, v3
	v_pk_fma_f16 v7, 0xb1e1, v15, v10 op_sel:[0,0,1] op_sel_hi:[0,1,0]
	v_add_f16_e32 v76, v100, v76
	v_fmac_f16_e32 v102, 0xbbf7, v32
	v_bfi_b32 v0, 0xffff, v0, v16
	v_pk_add_f16 v1, v1, v35
	v_pk_fma_f16 v10, 0x3b76, v18, v12 op_sel_hi:[0,1,1] neg_lo:[0,0,1] neg_hi:[0,0,1]
	v_pk_mul_f16 v13, 0xbacd, v21 op_sel_hi:[0,1]
	v_pk_add_f16 v7, v7, v35
	v_pk_fma_f16 v12, 0x3b76, v18, v12 op_sel_hi:[0,1,1]
	v_add_f16_e32 v77, v79, v77
	v_fma_f16 v79, v21, 0xb461, -v108
	v_fmac_f16_e32 v137, 0xbbf7, v19
	v_add_f16_e32 v76, v102, v76
	v_fmac_f16_e32 v106, 0xb836, v30
	v_pk_add_f16 v58, v73, v58
	v_pk_add_f16 v0, v0, v3
	;; [unrolled: 1-line block ×3, first 2 shown]
	v_pk_fma_f16 v3, 0xb836, v19, v13 op_sel:[0,0,1] op_sel_hi:[0,1,0] neg_lo:[0,1,0] neg_hi:[0,1,0]
	v_pk_mul_f16 v10, 0x39e9, v25 op_sel_hi:[0,1]
	v_pk_add_f16 v7, v12, v7
	v_pk_fma_f16 v12, 0xb836, v19, v13 op_sel:[0,0,1] op_sel_hi:[0,1,0]
	v_add_f16_e32 v77, v79, v77
	v_fma_f16 v79, v25, 0x3b76, -v99
	v_add_f16_e32 v83, v137, v83
	v_fmac_f16_e32 v139, 0x3a62, v20
	v_add_f16_e32 v74, v106, v76
	v_add_f16_e32 v59, v37, v59
	v_pk_add_f16 v58, v42, v58
	v_pk_add_f16 v1, v3, v1
	v_pk_fma_f16 v3, 0x3964, v20, v10 op_sel:[0,0,1] op_sel_hi:[0,1,0] neg_lo:[0,1,0] neg_hi:[0,1,0]
	v_pk_mul_f16 v15, 0xb8d2, v29 op_sel_hi:[0,1]
	v_pk_add_f16 v7, v12, v7
	v_pk_fma_f16 v10, 0x3964, v20, v10 op_sel:[0,0,1] op_sel_hi:[0,1,0]
	v_add_f16_e32 v77, v79, v77
	v_fma_f16 v79, v29, 0x3722, -v111
	v_add_f16_e32 v83, v139, v83
	v_fmac_f16_e32 v141, 0xb5c8, v24
	v_add_f16_e32 v59, v38, v59
	v_pk_add_f16 v58, v51, v58
	v_alignbit_b32 v13, v74, v0, 16
	v_pack_b32_f16 v0, v9, v0
	v_pk_add_f16 v1, v3, v1
	v_pk_fma_f16 v3, 0xba62, v24, v15 op_sel:[0,0,1] op_sel_hi:[0,1,0] neg_lo:[0,1,0] neg_hi:[0,1,0]
	v_pk_mul_f16 v9, 0x3722, v31 op_sel_hi:[0,1]
	v_pk_add_f16 v7, v10, v7
	v_pk_fma_f16 v10, 0xba62, v24, v15 op_sel:[0,0,1] op_sel_hi:[0,1,0]
	v_fmac_f16_e32 v113, 0x3bf7, v26
	v_add_f16_e32 v77, v79, v77
	v_fma_f16 v79, v31, 0xbacd, -v107
	v_add_f16_e32 v83, v141, v83
	v_fmac_f16_e32 v140, 0xb1e1, v26
	v_add_f16_e32 v59, v40, v59
	v_pk_add_f16 v58, v55, v58
	v_mul_f16_e32 v75, 0x3964, v30
	v_pk_add_f16 v1, v3, v1
	v_pk_fma_f16 v3, 0x3b29, v26, v9 op_sel:[0,0,1] op_sel_hi:[0,1,0] neg_lo:[0,1,0] neg_hi:[0,1,0]
	v_pk_mul_f16 v15, 0xb461, v33 op_sel_hi:[0,1]
	v_pk_add_f16 v7, v10, v7
	v_pk_fma_f16 v9, 0x3b29, v26, v9 op_sel:[0,0,1] op_sel_hi:[0,1,0]
	v_add_f16_e32 v66, v113, v66
	v_fmac_f16_e32 v123, 0xb5c8, v32
	v_add_f16_e32 v77, v79, v77
	v_fma_f16 v79, v33, 0xb8d2, -v115
	v_add_f16_e32 v83, v140, v83
	v_fmac_f16_e32 v143, 0x3964, v32
	v_pk_mul_f16 v71, 0xb83635c8, v30
	v_add_f16_e32 v59, v16, v59
	v_pk_add_f16 v1, v3, v1
	v_pk_fma_f16 v3, 0xbbb2, v32, v15 op_sel:[0,0,1] op_sel_hi:[0,1,0] neg_lo:[0,1,0] neg_hi:[0,1,0]
	v_pk_mul_f16 v16, 0x2de8, v34 op_sel_hi:[0,1]
	v_pk_add_f16 v7, v9, v7
	v_pk_fma_f16 v9, 0xbbb2, v32, v15 op_sel:[0,0,1] op_sel_hi:[0,1,0]
	v_bfi_b32 v17, 0xffff, v75, v58
	v_add_f16_e32 v66, v123, v66
	v_fmac_f16_e32 v126, 0xba62, v30
	v_fmamk_f16 v80, v30, 0x3964, v70
	v_add_f16_e32 v72, v79, v77
	v_fma_f16 v77, v34, 0x39e9, -v89
	v_fmamk_f16 v137, v30, 0x3bb2, v91
	v_add_f16_e32 v83, v143, v83
	v_fmac_f16_e32 v91, 0xbbb2, v30
	v_fmac_f16_e32 v135, 0x3b29, v30
	v_pk_add_f16 v1, v3, v1
	v_pk_fma_f16 v3, 0x3bf7, v30, v16 op_sel:[0,0,1] op_sel_hi:[0,1,0] neg_lo:[0,1,0] neg_hi:[0,1,0]
	v_pk_add_f16 v7, v9, v7
	v_pk_fma_f16 v9, 0x3bf7, v30, v16 op_sel:[0,0,1] op_sel_hi:[0,1,0]
	v_pack_b32_f16 v16, v78, v49
	v_bfi_b32 v6, 0xffff, v6, v71
	v_pk_add_f16 v17, v70, v17 neg_lo:[0,1] neg_hi:[0,1]
	v_pk_add_f16 v18, v52, v58
	v_fmamk_f16 v144, v34, 0x3722, v97
	v_add_f16_e32 v66, v126, v66
	v_add_f16_e32 v69, v80, v69
	;; [unrolled: 1-line block ×5, first 2 shown]
	v_pk_add_f16 v1, v3, v1
	v_pk_add_f16 v3, v9, v7
	;; [unrolled: 1-line block ×3, first 2 shown]
	v_bfi_b32 v7, 0xffff, v17, v18
	v_add_f16_e32 v92, v144, v92
	v_add_f16_e32 v93, v137, v93
	;; [unrolled: 1-line block ×3, first 2 shown]
	v_pack_b32_f16 v12, v67, v66
	v_pack_b32_f16 v10, v72, v69
	;; [unrolled: 1-line block ×4, first 2 shown]
	v_pk_add_f16 v6, v7, v6
	ds_write2_b32 v2, v0, v13 offset0:2 offset1:3
	ds_write2_b32 v2, v10, v12 offset0:4 offset1:5
	;; [unrolled: 1-line block ×3, first 2 shown]
	v_alignbit_b32 v0, v1, v3, 16
	v_alignbit_b32 v1, v3, v1, 16
	v_pack_b32_f16 v3, v92, v90
	v_pack_b32_f16 v7, v94, v93
	;; [unrolled: 1-line block ×3, first 2 shown]
	v_alignbit_b32 v5, v5, v6, 16
	v_pack_b32_f16 v6, v8, v6
	v_pack_b32_f16 v4, v4, v59
	v_perm_b32 v8, v28, v27, 0x5040100
	ds_write2_b32 v2, v1, v0 offset0:8 offset1:9
	ds_write2_b32 v2, v7, v3 offset0:10 offset1:11
	ds_write_b32 v2, v9 offset:48
	ds_write2_b32 v2, v6, v5 offset0:13 offset1:14
	ds_write2_b32 v2, v4, v8 offset0:15 offset1:16
.LBB0_7:
	s_or_b32 exec_lo, exec_lo, s4
	v_and_b32_e32 v0, 0xff, v48
	v_add_nc_u16 v16, v48, 0x66
	v_add_co_u32 v17, null, 0xcc, v48
	v_add_co_u32 v18, null, 0x132, v48
	v_mul_lo_u16 v2, 0xf1, v0
	v_and_b32_e32 v22, 0xff, v16
	v_mov_b32_e32 v0, 0xf0f1
	v_add_co_u32 v15, null, 0x198, v48
	v_lshrrev_b16 v7, 12, v2
	v_mul_lo_u16 v13, 0xf1, v22
	v_mul_u32_u24_sdwa v24, v17, v0 dst_sel:DWORD dst_unused:UNUSED_PAD src0_sel:WORD_0 src1_sel:DWORD
	v_mul_u32_u24_sdwa v23, v18, v0 dst_sel:DWORD dst_unused:UNUSED_PAD src0_sel:WORD_0 src1_sel:DWORD
	;; [unrolled: 1-line block ×3, first 2 shown]
	v_mul_lo_u16 v1, v7, 17
	v_lshrrev_b16 v36, 12, v13
	v_lshrrev_b32_e32 v38, 20, v24
	v_lshrrev_b32_e32 v58, 20, v23
	;; [unrolled: 1-line block ×3, first 2 shown]
	v_sub_nc_u16 v1, v48, v1
	v_mul_lo_u16 v3, v36, 17
	v_add_nc_u16 v19, v48, 0x1fe
	v_add_co_u32 v37, null, 0x264, v48
	v_and_b32_e32 v39, 0xff, v1
	v_sub_nc_u16 v1, v16, v3
	v_mul_lo_u16 v3, v38, 17
	v_mul_lo_u16 v5, v58, 17
	;; [unrolled: 1-line block ×3, first 2 shown]
	v_add_co_u32 v40, null, 0x2ca, v48
	v_mul_u32_u24_sdwa v20, v19, v0 dst_sel:DWORD dst_unused:UNUSED_PAD src0_sel:WORD_0 src1_sel:DWORD
	v_mov_b32_e32 v29, 2
	v_and_b32_e32 v41, 0xff, v1
	v_sub_nc_u16 v42, v17, v3
	v_mul_u32_u24_sdwa v9, v37, v0 dst_sel:DWORD dst_unused:UNUSED_PAD src0_sel:WORD_0 src1_sel:DWORD
	v_sub_nc_u16 v61, v18, v5
	v_sub_nc_u16 v63, v15, v6
	v_mul_u32_u24_sdwa v10, v40, v0 dst_sel:DWORD dst_unused:UNUSED_PAD src0_sel:WORD_0 src1_sel:DWORD
	v_lshrrev_b32_e32 v60, 20, v20
	v_lshlrev_b32_e32 v4, 2, v39
	v_lshlrev_b32_e32 v1, 2, v41
	v_lshlrev_b32_sdwa v3, v29, v42 dst_sel:DWORD dst_unused:UNUSED_PAD src0_sel:DWORD src1_sel:WORD_0
	v_lshrrev_b32_e32 v62, 20, v9
	v_lshlrev_b32_sdwa v5, v29, v61 dst_sel:DWORD dst_unused:UNUSED_PAD src0_sel:DWORD src1_sel:WORD_0
	v_lshlrev_b32_sdwa v8, v29, v63 dst_sel:DWORD dst_unused:UNUSED_PAD src0_sel:DWORD src1_sel:WORD_0
	v_lshrrev_b32_e32 v64, 20, v10
	v_mul_lo_u16 v0, v60, 17
	s_load_dwordx4 s[4:7], s[0:1], 0x0
	s_waitcnt lgkmcnt(0)
	s_barrier
	buffer_gl0_inv
	s_clause 0x4
	global_load_dword v57, v4, s[2:3]
	global_load_dword v54, v5, s[2:3]
	;; [unrolled: 1-line block ×5, first 2 shown]
	v_mul_lo_u16 v4, v62, 17
	v_mul_lo_u16 v6, v64, 17
	v_sub_nc_u16 v65, v19, v0
	v_lshlrev_b32_sdwa v49, v29, v48 dst_sel:DWORD dst_unused:UNUSED_PAD src0_sel:DWORD src1_sel:WORD_0
	v_lshrrev_b16 v77, 13, v2
	v_sub_nc_u16 v66, v37, v4
	v_sub_nc_u16 v67, v40, v6
	v_lshlrev_b32_sdwa v0, v29, v65 dst_sel:DWORD dst_unused:UNUSED_PAD src0_sel:DWORD src1_sel:WORD_0
	v_add_nc_u32_e32 v8, 0xc00, v49
	v_add_nc_u32_e32 v4, 0x200, v49
	v_lshlrev_b32_sdwa v1, v29, v66 dst_sel:DWORD dst_unused:UNUSED_PAD src0_sel:DWORD src1_sel:WORD_0
	v_lshlrev_b32_sdwa v3, v29, v67 dst_sel:DWORD dst_unused:UNUSED_PAD src0_sel:DWORD src1_sel:WORD_0
	s_clause 0x2
	global_load_dword v52, v0, s[2:3]
	global_load_dword v51, v1, s[2:3]
	;; [unrolled: 1-line block ×3, first 2 shown]
	v_add_nc_u32_e32 v74, 0xe00, v49
	v_add_nc_u32_e32 v75, 0x400, v49
	;; [unrolled: 1-line block ×3, first 2 shown]
	ds_read2_b32 v[0:1], v49 offset1:102
	v_add_nc_u32_e32 v5, 0x800, v49
	v_add_nc_u32_e32 v6, 0x1400, v49
	v_lshrrev_b32_e32 v83, 21, v9
	v_lshrrev_b32_e32 v84, 21, v10
	ds_read2_b32 v[2:3], v8 offset0:48 offset1:150
	ds_read2_b32 v[9:10], v4 offset0:76 offset1:178
	;; [unrolled: 1-line block ×7, first 2 shown]
	v_mul_lo_u16 v7, v7, 34
	v_mov_b32_e32 v68, 34
	v_mul_lo_u16 v69, v77, 34
	v_lshrrev_b16 v13, 13, v13
	v_lshrrev_b32_e32 v81, 21, v21
	v_and_b32_e32 v7, 0xfe, v7
	v_mul_u32_u24_sdwa v36, v36, v68 dst_sel:DWORD dst_unused:UNUSED_PAD src0_sel:WORD_0 src1_sel:DWORD
	v_sub_nc_u16 v68, v48, v69
	v_mul_lo_u16 v69, v13, 34
	v_mad_u16 v38, v38, 34, v42
	v_mad_u16 v42, v58, 34, v61
	v_add_lshl_u32 v185, v7, v39, 2
	v_mad_u16 v62, v62, 34, v66
	s_waitcnt lgkmcnt(6)
	v_lshrrev_b32_e32 v39, 16, v2
	v_sub_nc_u16 v66, v16, v69
	v_mul_lo_u16 v72, v81, 34
	v_mul_lo_u16 v79, v83, 34
	;; [unrolled: 1-line block ×3, first 2 shown]
	v_mad_u16 v58, v59, 34, v63
	v_mad_u16 v63, v64, 34, v67
	v_lshlrev_b32_sdwa v64, v29, v42 dst_sel:DWORD dst_unused:UNUSED_PAD src0_sel:DWORD src1_sel:WORD_0
	v_lshrrev_b32_e32 v42, 16, v3
	v_add_lshl_u32 v186, v36, v41, 2
	v_lshlrev_b32_sdwa v184, v29, v38 dst_sel:DWORD dst_unused:UNUSED_PAD src0_sel:DWORD src1_sel:WORD_0
	v_and_b32_e32 v38, 0xff, v66
	s_waitcnt lgkmcnt(4)
	v_lshrrev_b32_e32 v66, 16, v11
	v_lshrrev_b32_e32 v78, 21, v24
	v_sub_nc_u16 v88, v15, v72
	v_lshrrev_b32_e32 v72, 16, v12
	v_lshrrev_b32_e32 v82, 21, v20
	v_sub_nc_u16 v37, v37, v79
	s_waitcnt lgkmcnt(2)
	v_lshrrev_b32_e32 v79, 16, v30
	v_lshrrev_b32_e32 v91, 16, v31
	v_sub_nc_u16 v40, v40, v85
	v_and_b32_e32 v85, 0xff, v68
	v_lshrrev_b32_e32 v68, 16, v0
	s_waitcnt lgkmcnt(0)
	v_lshrrev_b32_e32 v93, 16, v34
	v_lshrrev_b32_e32 v95, 16, v35
	v_mul_lo_u16 v70, v78, 34
	v_mul_lo_u16 v73, v82, 34
	v_lshrrev_b32_e32 v69, 16, v1
	v_mad_u16 v61, v60, 34, v65
	v_lshlrev_b32_sdwa v65, v29, v58 dst_sel:DWORD dst_unused:UNUSED_PAD src0_sel:DWORD src1_sel:WORD_0
	v_lshrrev_b32_e32 v58, 16, v9
	v_sub_nc_u16 v86, v17, v70
	v_lshrrev_b32_e32 v70, 16, v10
	v_sub_nc_u16 v89, v19, v73
	v_lshrrev_b32_e32 v73, 16, v25
	v_lshrrev_b32_e32 v90, 16, v26
	;; [unrolled: 1-line block ×5, first 2 shown]
	s_waitcnt vmcnt(0)
	s_barrier
	v_mul_lo_u16 v71, v80, 34
	buffer_gl0_inv
	v_lshlrev_b32_sdwa v67, v29, v86 dst_sel:DWORD dst_unused:UNUSED_PAD src0_sel:DWORD src1_sel:WORD_0
	v_lshlrev_b32_sdwa v62, v29, v62 dst_sel:DWORD dst_unused:UNUSED_PAD src0_sel:DWORD src1_sel:WORD_0
	;; [unrolled: 1-line block ×3, first 2 shown]
	v_sub_nc_u16 v87, v18, v71
	v_lshlrev_b32_sdwa v71, v29, v61 dst_sel:DWORD dst_unused:UNUSED_PAD src0_sel:DWORD src1_sel:WORD_0
	v_lshlrev_b32_e32 v7, 2, v85
	v_lshlrev_b32_e32 v36, 2, v38
	v_cmp_gt_u16_e64 s0, 34, v48
	v_mul_f16_sdwa v41, v39, v57 dst_sel:DWORD dst_unused:UNUSED_PAD src0_sel:DWORD src1_sel:WORD_1
	v_mul_f16_sdwa v96, v2, v57 dst_sel:DWORD dst_unused:UNUSED_PAD src0_sel:DWORD src1_sel:WORD_1
	;; [unrolled: 1-line block ×5, first 2 shown]
	v_fma_f16 v2, v2, v57, -v41
	v_fmac_f16_e32 v96, v39, v57
	v_mul_f16_sdwa v39, v42, v55 dst_sel:DWORD dst_unused:UNUSED_PAD src0_sel:DWORD src1_sel:WORD_1
	v_mul_f16_sdwa v41, v3, v55 dst_sel:DWORD dst_unused:UNUSED_PAD src0_sel:DWORD src1_sel:WORD_1
	;; [unrolled: 1-line block ×5, first 2 shown]
	v_fma_f16 v3, v3, v55, -v39
	v_fmac_f16_e32 v41, v42, v55
	v_sub_f16_e32 v2, v0, v2
	v_sub_f16_e32 v39, v68, v96
	v_fma_f16 v11, v11, v56, -v97
	v_mul_f16_sdwa v103, v91, v52 dst_sel:DWORD dst_unused:UNUSED_PAD src0_sel:DWORD src1_sel:WORD_1
	v_mul_f16_sdwa v104, v31, v52 dst_sel:DWORD dst_unused:UNUSED_PAD src0_sel:DWORD src1_sel:WORD_1
	;; [unrolled: 1-line block ×6, first 2 shown]
	v_fmac_f16_e32 v98, v66, v56
	v_fma_f16 v12, v12, v54, -v99
	v_fmac_f16_e32 v100, v72, v54
	v_fma_f16 v30, v30, v53, -v101
	;; [unrolled: 2-line block ×5, first 2 shown]
	v_fmac_f16_e32 v108, v95, v50
	v_fma_f16 v0, v0, 2.0, -v2
	v_fma_f16 v42, v68, 2.0, -v39
	v_sub_f16_e32 v3, v1, v3
	v_sub_f16_e32 v41, v69, v41
	;; [unrolled: 1-line block ×14, first 2 shown]
	v_pack_b32_f16 v2, v2, v39
	v_fma_f16 v1, v1, 2.0, -v3
	v_fma_f16 v39, v69, 2.0, -v41
	v_pack_b32_f16 v0, v0, v42
	v_fma_f16 v9, v9, 2.0, -v11
	v_fma_f16 v58, v58, 2.0, -v66
	;; [unrolled: 1-line block ×12, first 2 shown]
	v_pack_b32_f16 v3, v3, v41
	ds_write2_b32 v185, v0, v2 offset1:17
	v_pack_b32_f16 v0, v1, v39
	v_pack_b32_f16 v11, v11, v66
	v_pack_b32_f16 v1, v9, v58
	v_pack_b32_f16 v12, v12, v68
	v_pack_b32_f16 v2, v10, v69
	v_pack_b32_f16 v30, v30, v72
	v_pack_b32_f16 v9, v25, v70
	v_pack_b32_f16 v31, v31, v79
	v_pack_b32_f16 v10, v26, v73
	v_pack_b32_f16 v34, v34, v91
	v_pack_b32_f16 v35, v35, v93
	v_pack_b32_f16 v25, v32, v90
	v_pack_b32_f16 v26, v33, v92
	ds_write2_b32 v186, v0, v3 offset1:17
	ds_write2_b32 v184, v1, v11 offset1:17
	;; [unrolled: 1-line block ×7, first 2 shown]
	v_lshlrev_b32_sdwa v0, v29, v87 dst_sel:DWORD dst_unused:UNUSED_PAD src0_sel:DWORD src1_sel:WORD_0
	v_lshlrev_b32_sdwa v1, v29, v88 dst_sel:DWORD dst_unused:UNUSED_PAD src0_sel:DWORD src1_sel:WORD_0
	;; [unrolled: 1-line block ×3, first 2 shown]
	s_waitcnt lgkmcnt(0)
	s_barrier
	buffer_gl0_inv
	s_clause 0x4
	global_load_dword v79, v7, s[2:3] offset:68
	global_load_dword v72, v36, s[2:3] offset:68
	global_load_dword v73, v67, s[2:3] offset:68
	global_load_dword v70, v0, s[2:3] offset:68
	global_load_dword v69, v1, s[2:3] offset:68
	v_lshlrev_b32_sdwa v0, v29, v37 dst_sel:DWORD dst_unused:UNUSED_PAD src0_sel:DWORD src1_sel:WORD_0
	v_lshlrev_b32_sdwa v1, v29, v40 dst_sel:DWORD dst_unused:UNUSED_PAD src0_sel:DWORD src1_sel:WORD_0
	s_clause 0x2
	global_load_dword v68, v2, s[2:3] offset:68
	global_load_dword v67, v0, s[2:3] offset:68
	;; [unrolled: 1-line block ×3, first 2 shown]
	v_mul_lo_u16 v0, 0x44, v77
	v_mov_b32_e32 v1, 0x44
	v_mad_u16 v25, 0x44, v78, v86
	v_mad_u16 v26, 0x44, v80, v87
	;; [unrolled: 1-line block ×3, first 2 shown]
	v_and_b32_e32 v9, 0xfc, v0
	v_mad_u16 v33, 0x44, v82, v89
	v_mul_u32_u24_sdwa v13, v13, v1 dst_sel:DWORD dst_unused:UNUSED_PAD src0_sel:WORD_0 src1_sel:DWORD
	ds_read2_b32 v[0:1], v49 offset1:102
	ds_read2_b32 v[2:3], v8 offset0:48 offset1:150
	v_lshlrev_b32_sdwa v80, v29, v25 dst_sel:DWORD dst_unused:UNUSED_PAD src0_sel:DWORD src1_sel:WORD_0
	v_add_lshl_u32 v78, v9, v85, 2
	ds_read2_b32 v[9:10], v4 offset0:76 offset1:178
	ds_read2_b32 v[11:12], v74 offset0:124 offset1:226
	v_lshlrev_b32_sdwa v74, v29, v26 dst_sel:DWORD dst_unused:UNUSED_PAD src0_sel:DWORD src1_sel:WORD_0
	ds_read2_b32 v[25:26], v75 offset0:152 offset1:254
	ds_read2_b32 v[30:31], v76 offset0:72 offset1:174
	v_lshlrev_b32_sdwa v75, v29, v32 dst_sel:DWORD dst_unused:UNUSED_PAD src0_sel:DWORD src1_sel:WORD_0
	v_lshlrev_b32_sdwa v14, v29, v33 dst_sel:DWORD dst_unused:UNUSED_PAD src0_sel:DWORD src1_sel:WORD_0
	ds_read2_b32 v[32:33], v5 offset0:100 offset1:202
	ds_read2_b32 v[34:35], v6 offset0:148 offset1:250
	v_mad_u16 v37, 0x44, v83, v37
	v_mad_u16 v39, 0x44, v84, v40
	v_add_lshl_u32 v81, v13, v38, 2
	v_add_nc_u32_e32 v7, 0x600, v49
	v_add_nc_u32_e32 v36, 0x1000, v49
	v_lshlrev_b32_sdwa v76, v29, v37 dst_sel:DWORD dst_unused:UNUSED_PAD src0_sel:DWORD src1_sel:WORD_0
	v_lshlrev_b32_sdwa v77, v29, v39 dst_sel:DWORD dst_unused:UNUSED_PAD src0_sel:DWORD src1_sel:WORD_0
	s_waitcnt vmcnt(0) lgkmcnt(0)
	s_barrier
	buffer_gl0_inv
	v_lshrrev_b32_e32 v13, 16, v0
	v_lshrrev_b32_e32 v37, 16, v2
	v_lshrrev_b32_e32 v39, 16, v3
	v_lshrrev_b32_e32 v38, 16, v1
	v_lshrrev_b32_e32 v41, 16, v11
	v_lshrrev_b32_e32 v58, 16, v12
	v_lshrrev_b32_e32 v84, 16, v30
	v_lshrrev_b32_e32 v86, 16, v31
	v_lshrrev_b32_e32 v40, 16, v9
	v_lshrrev_b32_e32 v88, 16, v34
	v_lshrrev_b32_e32 v90, 16, v35
	v_lshrrev_b32_e32 v42, 16, v10
	v_lshrrev_b32_e32 v83, 16, v25
	v_lshrrev_b32_e32 v85, 16, v26
	v_lshrrev_b32_e32 v87, 16, v32
	v_lshrrev_b32_e32 v89, 16, v33
	v_mul_f16_sdwa v91, v37, v79 dst_sel:DWORD dst_unused:UNUSED_PAD src0_sel:DWORD src1_sel:WORD_1
	v_mul_f16_sdwa v92, v2, v79 dst_sel:DWORD dst_unused:UNUSED_PAD src0_sel:DWORD src1_sel:WORD_1
	;; [unrolled: 1-line block ×16, first 2 shown]
	v_fma_f16 v2, v2, v79, -v91
	v_fmac_f16_e32 v92, v37, v79
	v_fma_f16 v3, v3, v72, -v93
	v_fmac_f16_e32 v94, v39, v72
	;; [unrolled: 2-line block ×8, first 2 shown]
	v_sub_f16_e32 v2, v0, v2
	v_sub_f16_e32 v37, v13, v92
	;; [unrolled: 1-line block ×16, first 2 shown]
	v_fma_f16 v0, v0, 2.0, -v2
	v_fma_f16 v13, v13, 2.0, -v37
	;; [unrolled: 1-line block ×16, first 2 shown]
	v_pack_b32_f16 v2, v2, v37
	v_pack_b32_f16 v0, v0, v13
	;; [unrolled: 1-line block ×16, first 2 shown]
	ds_write2_b32 v78, v0, v2 offset1:34
	ds_write2_b32 v81, v1, v3 offset1:34
	;; [unrolled: 1-line block ×8, first 2 shown]
	s_waitcnt lgkmcnt(0)
	s_barrier
	buffer_gl0_inv
	ds_read2_b32 v[2:3], v49 offset1:102
	ds_read2_b32 v[0:1], v7 offset0:24 offset1:160
	ds_read2_b32 v[10:11], v36 offset0:64 offset1:166
	;; [unrolled: 1-line block ×6, first 2 shown]
	ds_read_b32 v32, v49 offset:5984
                                        ; implicit-def: $vgpr33
                                        ; implicit-def: $vgpr34
	s_and_saveexec_b32 s1, s0
	s_cbranch_execz .LBB0_9
; %bb.8:
	ds_read_b32 v30, v49 offset:2040
	ds_read_b32 v27, v49 offset:4216
	;; [unrolled: 1-line block ×3, first 2 shown]
	s_waitcnt lgkmcnt(2)
	v_lshrrev_b32_e32 v31, 16, v30
	s_waitcnt lgkmcnt(1)
	v_lshrrev_b32_e32 v28, 16, v27
	;; [unrolled: 2-line block ×3, first 2 shown]
.LBB0_9:
	s_or_b32 exec_lo, exec_lo, s1
	v_mul_lo_u16 v22, 0x79, v22
	v_add_co_u32 v25, s1, 0xffffffbc, v48
	v_add_co_ci_u32_e64 v26, null, 0, -1, s1
	v_cmp_gt_u16_e64 s1, 0x44, v48
	v_lshrrev_b32_e32 v38, 22, v24
	v_lshrrev_b16 v40, 13, v22
	v_lshrrev_b32_e32 v39, 22, v23
	v_lshrrev_b32_e32 v83, 22, v21
	v_cndmask_b32_e64 v36, v26, 0, s1
	v_mul_lo_u16 v24, 0x44, v38
	v_mul_lo_u16 v26, 0x44, v40
	v_cndmask_b32_e64 v35, v25, v48, s1
	v_mul_lo_u16 v25, 0x44, v39
	v_lshrrev_b32_e32 v20, 22, v20
	v_sub_nc_u16 v41, v17, v24
	v_sub_nc_u16 v16, v16, v26
	v_lshlrev_b64 v[22:23], 3, v[35:36]
	v_sub_nc_u16 v42, v18, v25
	v_mul_lo_u16 v18, 0x44, v83
	s_waitcnt lgkmcnt(5)
	v_lshrrev_b32_e32 v88, 16, v10
	v_and_b32_e32 v87, 0xff, v16
	v_lshlrev_b16 v16, 3, v41
	v_lshlrev_b16 v17, 3, v42
	v_sub_nc_u16 v84, v15, v18
	v_mul_lo_u16 v18, 0x44, v20
	v_add_co_u32 v22, s1, s2, v22
	v_and_b32_e32 v16, 0xffff, v16
	v_add_co_ci_u32_e64 v23, s1, s3, v23, s1
	v_and_b32_e32 v17, 0xffff, v17
	v_sub_nc_u16 v58, v19, v18
	v_add_co_u32 v15, s1, s2, v16
	v_lshlrev_b16 v20, 3, v84
	global_load_dwordx2 v[21:22], v[22:23], off offset:204
	v_lshlrev_b32_e32 v23, 3, v87
	v_add_co_ci_u32_e64 v16, null, s3, 0, s1
	v_add_co_u32 v17, s1, s2, v17
	v_lshlrev_b16 v36, 3, v58
	v_add_co_ci_u32_e64 v18, null, s3, 0, s1
	v_and_b32_e32 v37, 0xffff, v20
	s_clause 0x2
	global_load_dwordx2 v[25:26], v23, s[2:3] offset:204
	global_load_dwordx2 v[23:24], v[15:16], off offset:204
	global_load_dwordx2 v[19:20], v[17:18], off offset:204
	v_and_b32_e32 v17, 0xffff, v36
	v_mov_b32_e32 v85, 0xcc
	v_mad_u16 v38, 0xcc, v38, v41
	v_add_co_u32 v15, s1, s2, v37
	v_add_co_ci_u32_e64 v16, null, s3, 0, s1
	v_add_co_u32 v36, s1, s2, v17
	v_add_co_ci_u32_e64 v37, null, s3, 0, s1
	s_clause 0x1
	global_load_dwordx2 v[17:18], v[15:16], off offset:204
	global_load_dwordx2 v[15:16], v[36:37], off offset:204
	v_cmp_lt_u16_e64 s1, 0x43, v48
	v_lshrrev_b32_e32 v37, 16, v1
	v_mad_u16 v39, 0xcc, v39, v42
	v_mad_u16 v41, 0xcc, v83, v84
	s_waitcnt lgkmcnt(4)
	v_lshrrev_b32_e32 v89, 16, v12
	v_cndmask_b32_e64 v86, 0, 0xcc, s1
	v_lshrrev_b32_e32 v90, 16, v11
	v_mul_u32_u24_sdwa v40, v40, v85 dst_sel:DWORD dst_unused:UNUSED_PAD src0_sel:WORD_0 src1_sel:DWORD
	v_lshlrev_b32_sdwa v84, v29, v38 dst_sel:DWORD dst_unused:UNUSED_PAD src0_sel:DWORD src1_sel:WORD_0
	v_lshlrev_b32_sdwa v83, v29, v39 dst_sel:DWORD dst_unused:UNUSED_PAD src0_sel:DWORD src1_sel:WORD_0
	v_add_lshl_u32 v85, v35, v86, 2
	v_lshlrev_b32_sdwa v82, v29, v41 dst_sel:DWORD dst_unused:UNUSED_PAD src0_sel:DWORD src1_sel:WORD_0
	v_lshrrev_b32_e32 v91, 16, v13
	s_waitcnt lgkmcnt(2)
	v_lshrrev_b32_e32 v94, 16, v6
	s_waitcnt lgkmcnt(1)
	v_lshrrev_b32_e32 v96, 16, v8
	v_lshrrev_b32_e32 v97, 16, v7
	;; [unrolled: 1-line block ×4, first 2 shown]
	s_waitcnt lgkmcnt(0)
	v_lshrrev_b32_e32 v100, 16, v32
	v_add_lshl_u32 v86, v40, v87, 2
	v_lshrrev_b32_e32 v92, 16, v3
	v_lshrrev_b32_e32 v93, 16, v4
	;; [unrolled: 1-line block ×4, first 2 shown]
	s_waitcnt vmcnt(0)
	s_barrier
	buffer_gl0_inv
	v_mul_f16_sdwa v29, v37, v21 dst_sel:DWORD dst_unused:UNUSED_PAD src0_sel:DWORD src1_sel:WORD_1
	v_mul_f16_sdwa v35, v1, v21 dst_sel:DWORD dst_unused:UNUSED_PAD src0_sel:DWORD src1_sel:WORD_1
	v_mul_f16_sdwa v38, v88, v22 dst_sel:DWORD dst_unused:UNUSED_PAD src0_sel:DWORD src1_sel:WORD_1
	v_mul_f16_sdwa v39, v10, v22 dst_sel:DWORD dst_unused:UNUSED_PAD src0_sel:DWORD src1_sel:WORD_1
	v_fma_f16 v29, v1, v21, -v29
	v_fmac_f16_e32 v35, v37, v21
	v_fma_f16 v37, v10, v22, -v38
	v_fmac_f16_e32 v39, v88, v22
	v_mul_f16_sdwa v38, v89, v25 dst_sel:DWORD dst_unused:UNUSED_PAD src0_sel:DWORD src1_sel:WORD_1
	v_mul_f16_sdwa v40, v12, v25 dst_sel:DWORD dst_unused:UNUSED_PAD src0_sel:DWORD src1_sel:WORD_1
	v_mul_f16_sdwa v41, v90, v26 dst_sel:DWORD dst_unused:UNUSED_PAD src0_sel:DWORD src1_sel:WORD_1
	v_mul_f16_sdwa v42, v11, v26 dst_sel:DWORD dst_unused:UNUSED_PAD src0_sel:DWORD src1_sel:WORD_1
	v_mul_f16_sdwa v88, v91, v23 dst_sel:DWORD dst_unused:UNUSED_PAD src0_sel:DWORD src1_sel:WORD_1
	v_mul_f16_sdwa v101, v13, v23 dst_sel:DWORD dst_unused:UNUSED_PAD src0_sel:DWORD src1_sel:WORD_1
	v_mul_f16_sdwa v102, v94, v24 dst_sel:DWORD dst_unused:UNUSED_PAD src0_sel:DWORD src1_sel:WORD_1
	v_mul_f16_sdwa v103, v6, v24 dst_sel:DWORD dst_unused:UNUSED_PAD src0_sel:DWORD src1_sel:WORD_1
	v_mul_f16_sdwa v104, v96, v19 dst_sel:DWORD dst_unused:UNUSED_PAD src0_sel:DWORD src1_sel:WORD_1
	v_mul_f16_sdwa v105, v8, v19 dst_sel:DWORD dst_unused:UNUSED_PAD src0_sel:DWORD src1_sel:WORD_1
	v_mul_f16_sdwa v106, v97, v20 dst_sel:DWORD dst_unused:UNUSED_PAD src0_sel:DWORD src1_sel:WORD_1
	v_mul_f16_sdwa v107, v7, v20 dst_sel:DWORD dst_unused:UNUSED_PAD src0_sel:DWORD src1_sel:WORD_1
	v_add_f16_e32 v115, v29, v37
	v_sub_f16_e32 v116, v35, v39
	v_mul_f16_sdwa v108, v99, v17 dst_sel:DWORD dst_unused:UNUSED_PAD src0_sel:DWORD src1_sel:WORD_1
	v_mul_f16_sdwa v109, v9, v17 dst_sel:DWORD dst_unused:UNUSED_PAD src0_sel:DWORD src1_sel:WORD_1
	;; [unrolled: 1-line block ×8, first 2 shown]
	v_add_f16_e32 v117, v36, v35
	v_add_f16_e32 v35, v35, v39
	v_fma_f16 v12, v12, v25, -v38
	v_fmac_f16_e32 v40, v89, v25
	v_fma_f16 v11, v11, v26, -v41
	v_fmac_f16_e32 v42, v90, v26
	;; [unrolled: 2-line block ×6, first 2 shown]
	v_add_f16_e32 v114, v2, v29
	v_sub_f16_e32 v29, v29, v37
	v_fma_f16 v9, v9, v17, -v108
	v_fmac_f16_e32 v109, v99, v17
	v_fma_f16 v32, v32, v18, -v110
	v_fmac_f16_e32 v111, v100, v18
	;; [unrolled: 2-line block ×4, first 2 shown]
	v_fma_f16 v2, -0.5, v115, v2
	v_add_f16_e32 v28, v117, v39
	v_fmac_f16_e32 v36, -0.5, v35
	v_add_f16_e32 v34, v12, v11
	v_add_f16_e32 v39, v40, v42
	;; [unrolled: 1-line block ×8, first 2 shown]
	v_sub_f16_e32 v35, v40, v42
	v_add_f16_e32 v37, v92, v40
	v_sub_f16_e32 v12, v12, v11
	v_add_f16_e32 v89, v93, v101
	v_add_f16_e32 v102, v9, v32
	;; [unrolled: 1-line block ×5, first 2 shown]
	v_fmamk_f16 v113, v116, 0x3aee, v2
	v_fmac_f16_e32 v2, 0xbaee, v116
	v_fmamk_f16 v114, v29, 0xbaee, v36
	v_fmac_f16_e32 v36, 0x3aee, v29
	v_fmac_f16_e32 v3, -0.5, v34
	v_fmac_f16_e32 v92, -0.5, v39
	v_add_f16_e32 v40, v4, v13
	v_sub_f16_e32 v90, v101, v103
	v_sub_f16_e32 v13, v13, v38
	v_fma_f16 v4, -0.5, v88, v4
	v_fmac_f16_e32 v93, -0.5, v91
	v_add_f16_e32 v94, v5, v8
	v_sub_f16_e32 v97, v105, v107
	v_add_f16_e32 v99, v95, v105
	v_sub_f16_e32 v8, v8, v41
	v_fmac_f16_e32 v5, -0.5, v96
	v_fmac_f16_e32 v95, -0.5, v100
	v_add_f16_e32 v101, v0, v9
	v_sub_f16_e32 v104, v109, v111
	v_add_f16_e32 v105, v98, v109
	v_sub_f16_e32 v9, v9, v32
	v_sub_f16_e32 v109, v10, v1
	;; [unrolled: 1-line block ×3, first 2 shown]
	v_pack_b32_f16 v27, v27, v28
	v_add_f16_e32 v11, v33, v11
	v_add_f16_e32 v28, v37, v42
	;; [unrolled: 1-line block ×3, first 2 shown]
	v_fmac_f16_e32 v0, -0.5, v102
	v_fmac_f16_e32 v98, -0.5, v106
	v_fma_f16 v88, -0.5, v108, v30
	v_fma_f16 v89, -0.5, v110, v31
	v_pack_b32_f16 v39, v113, v114
	v_pack_b32_f16 v2, v2, v36
	v_fmamk_f16 v36, v35, 0x3aee, v3
	v_fmac_f16_e32 v3, 0xbaee, v35
	v_fmamk_f16 v35, v12, 0xbaee, v92
	v_fmac_f16_e32 v92, 0x3aee, v12
	v_add_f16_e32 v29, v40, v38
	v_fmamk_f16 v12, v90, 0x3aee, v4
	v_fmamk_f16 v40, v13, 0xbaee, v93
	v_fmac_f16_e32 v4, 0xbaee, v90
	v_fmac_f16_e32 v93, 0x3aee, v13
	v_add_f16_e32 v34, v94, v41
	v_add_f16_e32 v37, v99, v107
	v_fmamk_f16 v13, v97, 0x3aee, v5
	v_fmamk_f16 v41, v8, 0xbaee, v95
	v_add_f16_e32 v32, v101, v32
	v_add_f16_e32 v38, v105, v111
	v_fmac_f16_e32 v5, 0xbaee, v97
	v_fmac_f16_e32 v95, 0x3aee, v8
	v_fmamk_f16 v8, v104, 0x3aee, v0
	v_fmac_f16_e32 v0, 0xbaee, v104
	v_fmamk_f16 v42, v9, 0xbaee, v98
	v_fmac_f16_e32 v98, 0x3aee, v9
	v_fmamk_f16 v90, v109, 0x3aee, v88
	v_fmac_f16_e32 v88, 0xbaee, v109
	v_fmamk_f16 v91, v112, 0xbaee, v89
	v_fmac_f16_e32 v89, 0x3aee, v112
	v_pack_b32_f16 v9, v11, v28
	ds_write2_b32 v85, v27, v39 offset1:68
	ds_write_b32 v85, v2 offset:544
	v_pack_b32_f16 v2, v36, v35
	v_pack_b32_f16 v3, v3, v92
	v_pack_b32_f16 v11, v29, v33
	v_pack_b32_f16 v12, v12, v40
	v_pack_b32_f16 v4, v4, v93
	v_pack_b32_f16 v28, v34, v37
	v_pack_b32_f16 v13, v13, v41
	v_pack_b32_f16 v29, v32, v38
	v_pack_b32_f16 v5, v5, v95
	v_pack_b32_f16 v8, v8, v42
	v_pack_b32_f16 v0, v0, v98
	ds_write2_b32 v86, v9, v2 offset1:68
	ds_write_b32 v86, v3 offset:544
	ds_write2_b32 v84, v11, v12 offset1:68
	ds_write_b32 v84, v4 offset:544
	;; [unrolled: 2-line block ×4, first 2 shown]
	s_and_saveexec_b32 s1, s0
	s_cbranch_execz .LBB0_11
; %bb.10:
	v_add_f16_e32 v0, v31, v10
	v_add_f16_e32 v2, v30, v7
	v_mov_b32_e32 v3, 2
	v_perm_b32 v4, v89, v88, 0x5040100
	v_add_f16_e32 v0, v0, v1
	v_add_f16_e32 v1, v2, v6
	v_lshlrev_b32_sdwa v2, v3, v58 dst_sel:DWORD dst_unused:UNUSED_PAD src0_sel:DWORD src1_sel:WORD_0
	v_perm_b32 v3, v91, v90, 0x5040100
	v_pack_b32_f16 v0, v1, v0
	v_add_nc_u32_e32 v1, 0x1400, v2
	ds_write2_b32 v1, v0, v3 offset0:148 offset1:216
	ds_write_b32 v2, v4 offset:6256
.LBB0_11:
	s_or_b32 exec_lo, exec_lo, s1
	v_mad_u64_u32 v[0:1], null, v48, 28, s[2:3]
	s_waitcnt lgkmcnt(0)
	s_barrier
	buffer_gl0_inv
	v_add_nc_u32_e32 v92, 0x200, v49
	v_add_nc_u32_e32 v93, 0x400, v49
	;; [unrolled: 1-line block ×3, first 2 shown]
	v_add_co_u32 v8, s1, 0xb28, v0
	s_clause 0x1
	global_load_dwordx4 v[4:7], v[0:1], off offset:748
	global_load_dwordx3 v[11:13], v[0:1], off offset:764
	v_add_co_ci_u32_e64 v9, s1, 0, v1, s1
	v_add_nc_u32_e32 v111, 0xc00, v49
	v_add_nc_u32_e32 v112, 0xe00, v49
	s_clause 0x1
	global_load_dwordx4 v[0:3], v[8:9], off offset:748
	global_load_dwordx3 v[8:10], v[8:9], off offset:764
	ds_read2_b32 v[27:28], v49 offset1:102
	v_add_nc_u32_e32 v113, 0x1200, v49
	v_add_nc_u32_e32 v114, 0x1400, v49
	ds_read2_b32 v[29:30], v92 offset0:76 offset1:178
	ds_read2_b32 v[31:32], v93 offset0:152 offset1:254
	;; [unrolled: 1-line block ×7, first 2 shown]
	s_waitcnt lgkmcnt(6)
	v_lshrrev_b32_e32 v95, 16, v29
	s_waitcnt lgkmcnt(5)
	v_lshrrev_b32_e32 v97, 16, v31
	;; [unrolled: 2-line block ×7, first 2 shown]
	v_lshrrev_b32_e32 v103, 16, v30
	v_lshrrev_b32_e32 v104, 16, v32
	;; [unrolled: 1-line block ×9, first 2 shown]
	s_waitcnt vmcnt(3)
	v_mul_f16_sdwa v115, v95, v4 dst_sel:DWORD dst_unused:UNUSED_PAD src0_sel:DWORD src1_sel:WORD_1
	v_mul_f16_sdwa v116, v29, v4 dst_sel:DWORD dst_unused:UNUSED_PAD src0_sel:DWORD src1_sel:WORD_1
	;; [unrolled: 1-line block ×8, first 2 shown]
	s_waitcnt vmcnt(2)
	v_mul_f16_sdwa v123, v100, v11 dst_sel:DWORD dst_unused:UNUSED_PAD src0_sel:DWORD src1_sel:WORD_1
	v_mul_f16_sdwa v124, v37, v11 dst_sel:DWORD dst_unused:UNUSED_PAD src0_sel:DWORD src1_sel:WORD_1
	;; [unrolled: 1-line block ×6, first 2 shown]
	v_fma_f16 v29, v29, v4, -v115
	v_fmac_f16_e32 v116, v95, v4
	v_fma_f16 v31, v31, v5, -v117
	v_fmac_f16_e32 v118, v97, v5
	;; [unrolled: 2-line block ×7, first 2 shown]
	s_waitcnt vmcnt(1)
	v_mul_f16_sdwa v95, v103, v0 dst_sel:DWORD dst_unused:UNUSED_PAD src0_sel:DWORD src1_sel:WORD_1
	v_mul_f16_sdwa v97, v30, v0 dst_sel:DWORD dst_unused:UNUSED_PAD src0_sel:DWORD src1_sel:WORD_1
	;; [unrolled: 1-line block ×8, first 2 shown]
	s_waitcnt vmcnt(0)
	v_mul_f16_sdwa v117, v107, v8 dst_sel:DWORD dst_unused:UNUSED_PAD src0_sel:DWORD src1_sel:WORD_1
	v_mul_f16_sdwa v119, v38, v8 dst_sel:DWORD dst_unused:UNUSED_PAD src0_sel:DWORD src1_sel:WORD_1
	v_mul_f16_sdwa v121, v108, v9 dst_sel:DWORD dst_unused:UNUSED_PAD src0_sel:DWORD src1_sel:WORD_1
	v_mul_f16_sdwa v123, v40, v9 dst_sel:DWORD dst_unused:UNUSED_PAD src0_sel:DWORD src1_sel:WORD_1
	v_mul_f16_sdwa v125, v109, v10 dst_sel:DWORD dst_unused:UNUSED_PAD src0_sel:DWORD src1_sel:WORD_1
	v_mul_f16_sdwa v127, v42, v10 dst_sel:DWORD dst_unused:UNUSED_PAD src0_sel:DWORD src1_sel:WORD_1
	v_fma_f16 v129, v30, v0, -v95
	v_fmac_f16_e32 v97, v103, v0
	v_fma_f16 v32, v32, v1, -v98
	v_fmac_f16_e32 v99, v104, v1
	;; [unrolled: 2-line block ×7, first 2 shown]
	v_sub_f16_e32 v35, v27, v35
	v_sub_f16_e32 v42, v94, v122
	;; [unrolled: 1-line block ×8, first 2 shown]
	v_fma_f16 v27, v27, 2.0, -v35
	v_fma_f16 v94, v94, 2.0, -v42
	;; [unrolled: 1-line block ×7, first 2 shown]
	v_sub_f16_e32 v106, v35, v95
	v_add_f16_e32 v39, v42, v39
	v_sub_f16_e32 v100, v37, v100
	v_add_f16_e32 v41, v98, v41
	v_sub_f16_e32 v105, v28, v30
	v_sub_f16_e32 v107, v96, v115
	v_sub_f16_e32 v38, v32, v38
	v_sub_f16_e32 v108, v99, v123
	v_sub_f16_e32 v109, v129, v36
	v_sub_f16_e32 v115, v97, v119
	v_sub_f16_e32 v36, v34, v40
	v_sub_f16_e32 v40, v101, v127
	v_fma_f16 v103, v116, 2.0, -v98
	v_sub_f16_e32 v31, v27, v31
	v_sub_f16_e32 v102, v94, v102
	v_fma_f16 v116, v35, 2.0, -v106
	v_sub_f16_e32 v33, v29, v33
	v_fma_f16 v37, v37, 2.0, -v100
	v_fmamk_f16 v30, v100, 0x39a8, v106
	v_fmamk_f16 v95, v41, 0x39a8, v39
	v_fma_f16 v117, v28, 2.0, -v105
	v_fma_f16 v96, v96, 2.0, -v107
	;; [unrolled: 1-line block ×8, first 2 shown]
	v_sub_f16_e32 v108, v105, v108
	v_add_f16_e32 v119, v107, v38
	v_sub_f16_e32 v40, v109, v40
	v_add_f16_e32 v120, v115, v36
	v_fma_f16 v42, v42, 2.0, -v39
	v_sub_f16_e32 v35, v103, v104
	v_fma_f16 v104, v98, 2.0, -v41
	v_fma_f16 v121, v27, 2.0, -v31
	;; [unrolled: 1-line block ×3, first 2 shown]
	v_fmamk_f16 v36, v37, 0xb9a8, v116
	v_add_f16_e32 v98, v102, v33
	v_fmac_f16_e32 v30, 0xb9a8, v41
	v_fmac_f16_e32 v95, 0x39a8, v100
	v_sub_f16_e32 v41, v117, v28
	v_sub_f16_e32 v123, v96, v32
	;; [unrolled: 1-line block ×4, first 2 shown]
	v_fma_f16 v124, v105, 2.0, -v108
	v_fma_f16 v107, v107, 2.0, -v119
	;; [unrolled: 1-line block ×5, first 2 shown]
	v_fmamk_f16 v28, v40, 0x39a8, v108
	v_fmamk_f16 v94, v120, 0x39a8, v119
	v_fma_f16 v38, v103, 2.0, -v35
	v_fmamk_f16 v99, v104, 0xb9a8, v42
	v_fmac_f16_e32 v36, 0xb9a8, v104
	v_fma_f16 v104, v39, 2.0, -v95
	v_fma_f16 v117, v117, 2.0, -v41
	;; [unrolled: 1-line block ×5, first 2 shown]
	v_sub_f16_e32 v29, v31, v35
	v_sub_f16_e32 v35, v121, v27
	v_fmamk_f16 v34, v101, 0xb9a8, v124
	v_fmamk_f16 v97, v115, 0xb9a8, v107
	v_sub_f16_e32 v27, v41, v33
	v_add_f16_e32 v96, v123, v32
	v_fmac_f16_e32 v28, 0xb9a8, v120
	v_fmac_f16_e32 v94, 0x39a8, v40
	v_sub_f16_e32 v103, v122, v38
	v_sub_f16_e32 v33, v117, v39
	;; [unrolled: 1-line block ×3, first 2 shown]
	v_fmac_f16_e32 v99, 0x39a8, v37
	v_fma_f16 v37, v31, 2.0, -v29
	v_fma_f16 v105, v102, 2.0, -v98
	v_fmac_f16_e32 v34, 0xb9a8, v115
	v_fmac_f16_e32 v97, 0x39a8, v101
	v_fma_f16 v39, v41, 2.0, -v27
	v_fma_f16 v102, v123, 2.0, -v96
	;; [unrolled: 1-line block ×5, first 2 shown]
	v_pack_b32_f16 v118, v29, v98
	v_fma_f16 v31, v121, 2.0, -v35
	v_fma_f16 v106, v122, 2.0, -v103
	v_pack_b32_f16 v122, v27, v96
	v_fma_f16 v41, v117, 2.0, -v33
	v_fma_f16 v108, v125, 2.0, -v100
	;; [unrolled: 3-line block ×3, first 2 shown]
	v_pack_b32_f16 v115, v37, v105
	v_pack_b32_f16 v123, v28, v94
	v_fma_f16 v42, v124, 2.0, -v34
	v_fma_f16 v107, v107, 2.0, -v97
	v_pack_b32_f16 v125, v39, v102
	v_pack_b32_f16 v116, v38, v104
	;; [unrolled: 1-line block ×8, first 2 shown]
	ds_write2_b32 v113, v118, v122 offset0:72 offset1:174
	ds_write2_b32 v114, v120, v123 offset0:148 offset1:250
	v_pack_b32_f16 v113, v41, v108
	v_pack_b32_f16 v124, v32, v109
	;; [unrolled: 1-line block ×3, first 2 shown]
	ds_write2_b32 v93, v115, v125 offset0:152 offset1:254
	ds_write2_b32 v110, v116, v126 offset0:100 offset1:202
	;; [unrolled: 1-line block ×4, first 2 shown]
	ds_write2_b32 v49, v117, v113 offset1:102
	ds_write2_b32 v92, v124, v114 offset0:76 offset1:178
	s_waitcnt lgkmcnt(0)
	s_barrier
	buffer_gl0_inv
	s_and_saveexec_b32 s8, vcc_lo
	s_cbranch_execz .LBB0_13
; %bb.12:
	s_add_u32 s2, s12, 0x1980
	s_addc_u32 s3, s13, 0
	v_add_co_u32 v110, s1, s2, v44
	global_load_dword v112, v44, s[2:3]
	v_add_co_ci_u32_e64 v111, null, s3, 0, s1
	v_add_co_u32 v92, s1, 0x800, v110
	v_or_b32_e32 v113, 0xc00, v44
	v_add_co_ci_u32_e64 v93, s1, 0, v111, s1
	v_add_co_u32 v110, s1, 0x1000, v110
	v_add_co_ci_u32_e64 v111, s1, 0, v111, s1
	v_or_b32_e32 v114, 0x1200, v44
	s_clause 0xc
	global_load_dword v124, v44, s[2:3] offset:384
	global_load_dword v125, v44, s[2:3] offset:768
	;; [unrolled: 1-line block ×5, first 2 shown]
	global_load_dword v129, v[92:93], off offset:256
	global_load_dword v130, v[92:93], off offset:640
	;; [unrolled: 1-line block ×3, first 2 shown]
	global_load_dword v132, v113, s[2:3]
	global_load_dword v133, v[110:111], off offset:128
	global_load_dword v134, v[110:111], off offset:896
	;; [unrolled: 1-line block ×4, first 2 shown]
	v_or_b32_e32 v92, 0x1800, v44
	s_clause 0x2
	global_load_dword v137, v114, s[2:3]
	global_load_dword v138, v92, s[2:3]
	global_load_dword v139, v[110:111], off offset:1664
	ds_read_b32 v92, v49
	v_add_nc_u32_e32 v140, 0x400, v44
	v_add_nc_u32_e32 v141, 0x600, v44
	;; [unrolled: 1-line block ×7, first 2 shown]
	s_waitcnt lgkmcnt(0)
	v_lshrrev_b32_e32 v93, 16, v92
	s_waitcnt vmcnt(16)
	v_mul_f16_sdwa v110, v93, v112 dst_sel:DWORD dst_unused:UNUSED_PAD src0_sel:DWORD src1_sel:WORD_1
	v_mul_f16_sdwa v111, v92, v112 dst_sel:DWORD dst_unused:UNUSED_PAD src0_sel:DWORD src1_sel:WORD_1
	v_fma_f16 v92, v92, v112, -v110
	v_fmac_f16_e32 v111, v93, v112
	v_pack_b32_f16 v92, v92, v111
	ds_write_b32 v49, v92
	ds_read2_b32 v[92:93], v44 offset0:96 offset1:192
	ds_read2_b32 v[110:111], v140 offset0:32 offset1:128
	;; [unrolled: 1-line block ×8, first 2 shown]
	s_waitcnt lgkmcnt(7)
	v_lshrrev_b32_e32 v147, 16, v92
	s_waitcnt vmcnt(15)
	v_mul_f16_sdwa v148, v92, v124 dst_sel:DWORD dst_unused:UNUSED_PAD src0_sel:DWORD src1_sel:WORD_1
	v_lshrrev_b32_e32 v149, 16, v93
	s_waitcnt vmcnt(14)
	v_mul_f16_sdwa v150, v93, v125 dst_sel:DWORD dst_unused:UNUSED_PAD src0_sel:DWORD src1_sel:WORD_1
	s_waitcnt lgkmcnt(6)
	v_lshrrev_b32_e32 v151, 16, v110
	s_waitcnt vmcnt(13)
	v_mul_f16_sdwa v152, v110, v126 dst_sel:DWORD dst_unused:UNUSED_PAD src0_sel:DWORD src1_sel:WORD_1
	v_lshrrev_b32_e32 v153, 16, v111
	s_waitcnt vmcnt(12)
	v_mul_f16_sdwa v154, v111, v127 dst_sel:DWORD dst_unused:UNUSED_PAD src0_sel:DWORD src1_sel:WORD_1
	;; [unrolled: 7-line block ×4, first 2 shown]
	s_waitcnt lgkmcnt(3)
	v_lshrrev_b32_e32 v163, 16, v116
	v_mul_f16_sdwa v164, v116, v131 dst_sel:DWORD dst_unused:UNUSED_PAD src0_sel:DWORD src1_sel:WORD_1
	v_lshrrev_b32_e32 v165, 16, v117
	s_waitcnt vmcnt(3)
	v_mul_f16_sdwa v166, v117, v136 dst_sel:DWORD dst_unused:UNUSED_PAD src0_sel:DWORD src1_sel:WORD_1
	s_waitcnt lgkmcnt(2)
	v_lshrrev_b32_e32 v167, 16, v118
	v_mul_f16_sdwa v168, v118, v133 dst_sel:DWORD dst_unused:UNUSED_PAD src0_sel:DWORD src1_sel:WORD_1
	v_lshrrev_b32_e32 v169, 16, v119
	s_waitcnt vmcnt(2)
	v_mul_f16_sdwa v170, v119, v137 dst_sel:DWORD dst_unused:UNUSED_PAD src0_sel:DWORD src1_sel:WORD_1
	s_waitcnt lgkmcnt(1)
	v_lshrrev_b32_e32 v171, 16, v120
	v_mul_f16_sdwa v172, v120, v134 dst_sel:DWORD dst_unused:UNUSED_PAD src0_sel:DWORD src1_sel:WORD_1
	v_lshrrev_b32_e32 v173, 16, v121
	v_mul_f16_sdwa v174, v121, v135 dst_sel:DWORD dst_unused:UNUSED_PAD src0_sel:DWORD src1_sel:WORD_1
	s_waitcnt lgkmcnt(0)
	v_lshrrev_b32_e32 v175, 16, v122
	s_waitcnt vmcnt(0)
	v_mul_f16_sdwa v176, v122, v139 dst_sel:DWORD dst_unused:UNUSED_PAD src0_sel:DWORD src1_sel:WORD_1
	v_lshrrev_b32_e32 v177, 16, v123
	v_mul_f16_sdwa v179, v147, v124 dst_sel:DWORD dst_unused:UNUSED_PAD src0_sel:DWORD src1_sel:WORD_1
	v_fmac_f16_e32 v148, v147, v124
	v_mul_f16_sdwa v147, v149, v125 dst_sel:DWORD dst_unused:UNUSED_PAD src0_sel:DWORD src1_sel:WORD_1
	v_fmac_f16_e32 v150, v149, v125
	;; [unrolled: 2-line block ×9, first 2 shown]
	v_mul_f16_sdwa v163, v165, v136 dst_sel:DWORD dst_unused:UNUSED_PAD src0_sel:DWORD src1_sel:WORD_1
	v_mul_f16_sdwa v178, v123, v138 dst_sel:DWORD dst_unused:UNUSED_PAD src0_sel:DWORD src1_sel:WORD_1
	v_fmac_f16_e32 v166, v165, v136
	v_mul_f16_sdwa v165, v167, v133 dst_sel:DWORD dst_unused:UNUSED_PAD src0_sel:DWORD src1_sel:WORD_1
	v_fmac_f16_e32 v168, v167, v133
	;; [unrolled: 2-line block ×6, first 2 shown]
	v_mul_f16_sdwa v175, v177, v138 dst_sel:DWORD dst_unused:UNUSED_PAD src0_sel:DWORD src1_sel:WORD_1
	v_fma_f16 v92, v92, v124, -v179
	v_fma_f16 v93, v93, v125, -v147
	;; [unrolled: 1-line block ×10, first 2 shown]
	v_fmac_f16_e32 v178, v177, v138
	v_fma_f16 v118, v118, v133, -v165
	v_fma_f16 v119, v119, v137, -v167
	;; [unrolled: 1-line block ×6, first 2 shown]
	v_pack_b32_f16 v92, v92, v148
	v_pack_b32_f16 v93, v93, v150
	;; [unrolled: 1-line block ×16, first 2 shown]
	ds_write2_b32 v44, v92, v93 offset0:96 offset1:192
	ds_write2_b32 v140, v110, v111 offset0:32 offset1:128
	;; [unrolled: 1-line block ×8, first 2 shown]
.LBB0_13:
	s_or_b32 exec_lo, exec_lo, s8
	s_waitcnt lgkmcnt(0)
	s_barrier
	buffer_gl0_inv
	s_and_saveexec_b32 s1, vcc_lo
	s_cbranch_execz .LBB0_15
; %bb.14:
	v_add_nc_u32_e32 v27, 0x200, v49
	v_add_nc_u32_e32 v28, 0x400, v49
	;; [unrolled: 1-line block ×4, first 2 shown]
	ds_read2_b32 v[31:32], v49 offset1:96
	ds_read2_b32 v[37:38], v27 offset0:64 offset1:160
	v_add_nc_u32_e32 v27, 0xc00, v49
	ds_read2_b32 v[35:36], v28 offset0:128 offset1:224
	v_add_nc_u32_e32 v28, 0xe00, v49
	ds_read2_b32 v[29:30], v29 offset0:64 offset1:160
	ds_read2_b32 v[41:42], v27 offset1:96
	v_add_nc_u32_e32 v27, 0x1400, v49
	ds_read2_b32 v[39:40], v28 offset0:64 offset1:160
	ds_read2_b32 v[33:34], v33 offset0:128 offset1:224
	ds_read2_b32 v[27:28], v27 offset0:64 offset1:160
	ds_read_b32 v90, v49 offset:6144
	s_waitcnt lgkmcnt(8)
	v_lshrrev_b32_e32 v106, 16, v31
	v_lshrrev_b32_e32 v109, 16, v32
	s_waitcnt lgkmcnt(7)
	v_lshrrev_b32_e32 v105, 16, v37
	v_lshrrev_b32_e32 v104, 16, v38
	s_waitcnt lgkmcnt(6)
	v_lshrrev_b32_e32 v103, 16, v35
	v_lshrrev_b32_e32 v99, 16, v36
	s_waitcnt lgkmcnt(5)
	v_lshrrev_b32_e32 v98, 16, v29
	v_lshrrev_b32_e32 v95, 16, v30
	s_waitcnt lgkmcnt(4)
	v_lshrrev_b32_e32 v108, 16, v41
	v_lshrrev_b32_e32 v107, 16, v42
	s_waitcnt lgkmcnt(3)
	v_lshrrev_b32_e32 v102, 16, v39
	v_lshrrev_b32_e32 v101, 16, v40
	s_waitcnt lgkmcnt(2)
	v_lshrrev_b32_e32 v100, 16, v33
	v_lshrrev_b32_e32 v97, 16, v34
	s_waitcnt lgkmcnt(1)
	v_lshrrev_b32_e32 v96, 16, v27
	v_lshrrev_b32_e32 v94, 16, v28
	s_waitcnt lgkmcnt(0)
	v_lshrrev_b32_e32 v91, 16, v90
.LBB0_15:
	s_or_b32 exec_lo, exec_lo, s1
	v_sub_f16_e32 v157, v109, v91
	v_add_f16_e32 v140, v91, v109
	v_add_f16_e32 v155, v90, v32
	v_sub_f16_e32 v111, v32, v90
	v_sub_f16_e32 v148, v105, v94
	v_mul_f16_e32 v156, 0xb5c8, v157
	v_mul_f16_e32 v43, 0x3b76, v140
	v_add_f16_e32 v141, v94, v105
	v_add_f16_e32 v110, v28, v37
	v_sub_f16_e32 v114, v37, v28
	v_fma_f16 v92, v155, 0x3b76, -v156
	v_fmamk_f16 v93, v111, 0xb5c8, v43
	v_mul_f16_e32 v124, 0xb964, v148
	v_mul_f16_e32 v47, 0x39e9, v141
	v_sub_f16_e32 v149, v104, v96
	v_add_f16_e32 v142, v96, v104
	v_add_f16_e32 v92, v31, v92
	v_add_f16_e32 v93, v106, v93
	v_fma_f16 v117, v110, 0x39e9, -v124
	v_fmamk_f16 v119, v114, 0xb964, v47
	v_add_f16_e32 v118, v27, v38
	v_mul_f16_e32 v127, 0xbb29, v149
	v_sub_f16_e32 v123, v38, v27
	v_mul_f16_e32 v112, 0x3722, v142
	v_sub_f16_e32 v150, v103, v97
	v_add_f16_e32 v143, v97, v103
	v_add_f16_e32 v92, v117, v92
	v_add_f16_e32 v93, v119, v93
	v_fma_f16 v119, v118, 0x3722, -v127
	v_fmamk_f16 v122, v123, 0xbb29, v112
	v_add_f16_e32 v120, v34, v35
	v_sub_f16_e32 v126, v35, v34
	v_mul_f16_e32 v131, 0xbbf7, v150
	v_mul_f16_e32 v61, 0x2de8, v143
	v_sub_f16_e32 v151, v99, v100
	v_add_f16_e32 v144, v100, v99
	v_add_f16_e32 v92, v119, v92
	v_add_f16_e32 v93, v122, v93
	v_fma_f16 v122, v120, 0x2de8, -v131
	v_fmamk_f16 v128, v126, 0xbbf7, v61
	v_add_f16_e32 v125, v33, v36
	v_mul_f16_e32 v134, 0xbbb2, v151
	v_sub_f16_e32 v133, v36, v33
	v_mul_f16_e32 v113, 0xb461, v144
	v_sub_f16_e32 v152, v98, v101
	v_add_f16_e32 v145, v101, v98
	v_add_f16_e32 v92, v122, v92
	v_add_f16_e32 v93, v128, v93
	v_fma_f16 v129, v125, 0xb461, -v134
	v_fmamk_f16 v130, v133, 0xbbb2, v113
	v_add_f16_e32 v128, v40, v29
	v_sub_f16_e32 v136, v29, v40
	;; [unrolled: 20-line block ×3, first 2 shown]
	v_mul_f16_e32 v119, 0xb1e1, v154
	v_mul_f16_e32 v121, 0xbbdd, v147
	v_add_f16_e32 v92, v158, v92
	v_add_f16_e32 v93, v159, v93
	v_fma_f16 v158, v132, 0xbbdd, -v119
	v_fmamk_f16 v159, v139, 0xb1e1, v121
	s_barrier
	buffer_gl0_inv
	v_add_f16_e32 v92, v158, v92
	v_add_f16_e32 v93, v159, v93
	s_and_saveexec_b32 s1, vcc_lo
	s_cbranch_execz .LBB0_17
; %bb.16:
	v_add_f16_e32 v32, v32, v31
	v_mul_f16_e32 v164, 0xbbf7, v114
	v_mul_f16_e32 v165, 0xba62, v123
	v_mul_f16_e32 v166, 0xb1e1, v126
	v_mul_f16_e32 v167, 0x3836, v133
	v_add_f16_e32 v32, v37, v32
	v_mul_f16_e32 v37, 0xb836, v157
	v_mul_f16_e32 v168, 0xbbf7, v148
	v_mul_f16_e32 v169, 0xba62, v149
	v_mul_f16_e32 v170, 0x3b29, v138
	;; [unrolled: 5-line block ×5, first 2 shown]
	v_add_f16_e32 v29, v29, v32
	v_mul_f16_e32 v32, 0xbb29, v157
	v_fma_f16 v158, v155, 0x2de8, -v36
	v_fmac_f16_e32 v36, 0x2de8, v155
	buffer_store_dword v119, off, s[16:19], 0 offset:16 ; 4-byte Folded Spill
	v_add_f16_e32 v29, v30, v29
	v_mul_f16_e32 v30, 0xb964, v157
	v_fma_f16 v159, v155, 0x3722, -v32
	v_fmac_f16_e32 v32, 0x3722, v155
	v_add_f16_e32 v158, v31, v158
	v_add_f16_e32 v29, v41, v29
	v_fma_f16 v41, v155, 0xbacd, -v37
	v_fmac_f16_e32 v37, 0xbacd, v155
	v_fma_f16 v160, v155, 0x39e9, -v30
	v_fmac_f16_e32 v30, 0x39e9, v155
	v_add_f16_e32 v29, v42, v29
	v_add_f16_e32 v159, v31, v159
	;; [unrolled: 1-line block ×6, first 2 shown]
	v_mul_f16_e32 v39, 0xba62, v157
	v_fma_f16 v157, v155, 0xb461, -v38
	v_fmac_f16_e32 v38, 0xb461, v155
	v_add_f16_e32 v161, v31, v36
	v_add_f16_e32 v29, v40, v29
	v_fma_f16 v40, v155, 0xbbdd, -v35
	v_fmac_f16_e32 v35, 0xbbdd, v155
	v_fma_f16 v42, v155, 0xb8d2, -v39
	v_fmac_f16_e32 v39, 0xb8d2, v155
	v_mul_f16_e32 v155, 0x3b76, v155
	v_add_f16_e32 v157, v31, v157
	v_add_f16_e32 v40, v31, v40
	;; [unrolled: 1-line block ×10, first 2 shown]
	v_mul_f16_e32 v155, 0xb964, v111
	v_fmamk_f16 v31, v141, 0x2de8, v164
	v_add_f16_e32 v29, v33, v29
	v_fmamk_f16 v33, v141, 0xb8d2, v172
	v_mov_b32_e32 v119, v85
	v_fmamk_f16 v30, v140, 0x39e9, v155
	v_mov_b32_e32 v85, v76
	v_add_f16_e32 v29, v34, v29
	v_mov_b32_e32 v76, v62
	v_mov_b32_e32 v62, v180
	v_add_f16_e32 v30, v106, v30
	v_mul_f16_e32 v180, 0x35c8, v139
	buffer_store_dword v29, off, s[16:19], 0 offset:4 ; 4-byte Folded Spill
	v_mov_b32_e32 v115, v82
	v_mov_b32_e32 v82, v74
	v_add_f16_e32 v30, v31, v30
	v_fmamk_f16 v31, v142, 0xb8d2, v165
	v_mov_b32_e32 v74, v65
	v_mov_b32_e32 v65, v183
	v_mul_f16_e32 v201, 0x3836, v114
	v_mul_f16_e32 v217, 0x3bb2, v114
	v_add_f16_e32 v30, v31, v30
	v_fmamk_f16 v31, v143, 0xbbdd, v166
	v_add_f16_e32 v109, v109, v106
	v_fmamk_f16 v202, v141, 0xbacd, v201
	v_fmamk_f16 v218, v141, 0xb461, v217
	v_mov_b32_e32 v122, v43
	v_add_f16_e32 v30, v31, v30
	v_fmamk_f16 v31, v144, 0xbacd, v167
	v_add_f16_e32 v105, v105, v109
	v_mov_b32_e32 v130, v47
	v_mul_f16_e32 v233, 0x3b29, v114
	v_mul_f16_e32 v255, 0x35c8, v114
	v_add_f16_e32 v30, v31, v30
	v_fma_f16 v31, v110, 0x2de8, -v168
	v_add_f16_e32 v104, v104, v105
	v_fmamk_f16 v234, v141, 0x3722, v233
	v_fmamk_f16 v47, v141, 0x3b76, v255
	v_mov_b32_e32 v135, v61
	v_add_f16_e32 v31, v31, v156
	v_mul_f16_e32 v156, 0x3bb2, v136
	v_add_f16_e32 v103, v103, v104
	v_mul_f16_e32 v104, 0xb5c8, v111
	v_fmac_f16_e32 v168, 0x2de8, v110
	v_fmamk_f16 v32, v145, 0xb461, v156
	v_add_f16_e32 v99, v99, v103
	v_sub_f16_e32 v104, v122, v104
	v_add_f16_e32 v30, v32, v30
	v_fma_f16 v32, v118, 0xb8d2, -v169
	v_add_f16_e32 v103, v106, v104
	v_mul_f16_e32 v104, 0xb964, v114
	v_add_f16_e32 v98, v98, v99
	v_mul_f16_e32 v99, 0x39e9, v110
	v_add_f16_e32 v31, v32, v31
	v_fmamk_f16 v32, v146, 0x3722, v170
	v_sub_f16_e32 v104, v130, v104
	v_add_f16_e32 v95, v95, v98
	v_add_f16_e32 v99, v99, v124
	v_mul_f16_e32 v98, 0xbbf7, v126
	v_add_f16_e32 v30, v32, v30
	v_fmamk_f16 v32, v140, 0x3722, v171
	v_add_f16_e32 v103, v104, v103
	v_mul_f16_e32 v104, 0xbb29, v123
	v_add_f16_e32 v95, v108, v95
	v_add_f16_e32 v35, v99, v35
	;; [unrolled: 1-line block ×3, first 2 shown]
	v_sub_f16_e32 v98, v135, v98
	v_fmac_f16_e32 v169, 0xb8d2, v118
	v_add_f16_e32 v95, v107, v95
	v_add_f16_e32 v32, v33, v32
	v_fma_f16 v33, v120, 0xbbdd, -v173
	v_fmac_f16_e32 v173, 0xbbdd, v120
	v_add_f16_e32 v95, v102, v95
	v_add_f16_e32 v31, v33, v31
	v_fmamk_f16 v33, v142, 0xbbdd, v174
	v_add_f16_e32 v95, v101, v95
	v_mul_f16_e32 v101, 0xb836, v138
	v_add_f16_e32 v32, v33, v32
	v_fma_f16 v33, v125, 0xbacd, -v175
	v_add_f16_e32 v95, v100, v95
	v_fmac_f16_e32 v175, 0xbacd, v125
	v_add_f16_e32 v31, v33, v31
	v_fmamk_f16 v33, v143, 0xb461, v176
	v_add_f16_e32 v95, v97, v95
	v_add_f16_e32 v32, v33, v32
	v_fma_f16 v33, v128, 0xb461, -v177
	v_fmac_f16_e32 v177, 0xb461, v128
	v_add_f16_e32 v31, v33, v31
	v_fmamk_f16 v33, v144, 0x39e9, v178
	v_add_f16_e32 v32, v33, v32
	v_mul_f16_e32 v33, 0x3b29, v153
	v_fma_f16 v34, v129, 0x3722, -v33
	v_fmac_f16_e32 v33, 0x3722, v129
	v_add_f16_e32 v31, v34, v31
	v_fmamk_f16 v34, v145, 0x3b76, v179
	v_add_f16_e32 v34, v34, v32
	v_fmamk_f16 v32, v147, 0x3b76, v180
	v_add_f16_e32 v29, v32, v30
	v_mul_f16_e32 v32, 0x35c8, v154
	v_mov_b32_e32 v30, v113
	v_mov_b32_e32 v113, v81
	v_mov_b32_e32 v81, v186
	buffer_store_dword v29, off, s[16:19], 0 offset:8 ; 4-byte Folded Spill
	v_fma_f16 v36, v132, 0x3b76, -v32
	v_fmac_f16_e32 v32, 0x3b76, v132
	v_add_f16_e32 v29, v36, v31
	buffer_store_dword v29, off, s[16:19], 0 offset:12 ; 4-byte Folded Spill
	buffer_store_dword v121, off, s[16:19], 0 offset:20 ; 4-byte Folded Spill
	v_mov_b32_e32 v121, v86
	v_mov_b32_e32 v86, v77
	;; [unrolled: 1-line block ×4, first 2 shown]
	v_mul_f16_e32 v181, 0xbbf7, v138
	buffer_store_dword v117, off, s[16:19], 0 offset:24 ; 4-byte Folded Spill
	v_mov_b32_e32 v117, v84
	v_mov_b32_e32 v84, v14
	;; [unrolled: 1-line block ×3, first 2 shown]
	v_fmamk_f16 v36, v146, 0x2de8, v181
	v_mov_b32_e32 v75, v71
	v_mov_b32_e32 v71, v64
	;; [unrolled: 1-line block ×3, first 2 shown]
	v_mul_f16_e32 v182, 0xba62, v148
	v_add_f16_e32 v34, v36, v34
	buffer_store_dword v78, off, s[16:19], 0 ; 4-byte Folded Spill
	v_mov_b32_e32 v78, v184
	v_mov_b32_e32 v29, v112
	v_fma_f16 v36, v110, 0xb8d2, -v182
	v_mov_b32_e32 v112, v80
	v_mov_b32_e32 v80, v185
	v_mul_f16_e32 v185, 0xb1e1, v114
	v_mov_b32_e32 v31, v116
	v_add_f16_e32 v36, v36, v159
	v_mul_f16_e32 v159, 0x31e1, v149
	v_mov_b32_e32 v116, v83
	v_fmamk_f16 v186, v141, 0xbbdd, v185
	v_mov_b32_e32 v83, v187
	v_sub_f16_e32 v104, v29, v104
	v_fma_f16 v183, v118, 0xbbdd, -v159
	buffer_load_dword v29, off, s[16:19], 0 offset:24 ; 4-byte Folded Reload
	v_fmac_f16_e32 v182, 0xb8d2, v110
	v_fmac_f16_e32 v159, 0xbbdd, v118
	v_add_f16_e32 v103, v104, v103
	v_add_f16_e32 v36, v183, v36
	v_mul_f16_e32 v183, 0xbbf7, v111
	v_mul_f16_e32 v104, 0x2de8, v120
	v_add_f16_e32 v98, v98, v103
	v_mul_f16_e32 v103, 0xb461, v125
	v_fmamk_f16 v184, v140, 0x2de8, v183
	v_add_f16_e32 v104, v104, v131
	v_add_f16_e32 v102, v103, v134
	;; [unrolled: 1-line block ×4, first 2 shown]
	v_mul_f16_e32 v186, 0x3bb2, v150
	v_fma_f16 v187, v120, 0xb461, -v186
	v_fmac_f16_e32 v186, 0xb461, v120
	v_add_f16_e32 v36, v187, v36
	v_mul_f16_e32 v187, 0x3bb2, v123
	v_fmamk_f16 v188, v142, 0xb461, v187
	v_add_f16_e32 v184, v188, v184
	v_mul_f16_e32 v188, 0x3964, v151
	v_fma_f16 v189, v125, 0x39e9, -v188
	v_fmac_f16_e32 v188, 0x39e9, v125
	v_add_f16_e32 v36, v189, v36
	v_mul_f16_e32 v189, 0x35c8, v126
	v_fmamk_f16 v190, v143, 0x3b76, v189
	v_add_f16_e32 v184, v190, v184
	;; [unrolled: 7-line block ×4, first 2 shown]
	v_mul_f16_e32 v194, 0xb836, v139
	v_fmamk_f16 v195, v147, 0xbacd, v194
	v_add_f16_e32 v34, v195, v34
	v_mul_f16_e32 v195, 0xb836, v154
	v_fma_f16 v196, v132, 0xbacd, -v195
	v_fmac_f16_e32 v195, 0xbacd, v132
	v_add_f16_e32 v36, v196, v36
	v_mul_f16_e32 v196, 0x3a62, v138
	v_fmamk_f16 v197, v146, 0xb8d2, v196
	v_add_f16_e32 v184, v197, v184
	v_mul_f16_e32 v197, 0xb1e1, v148
	v_fma_f16 v198, v110, 0xbbdd, -v197
	v_fmac_f16_e32 v197, 0xbbdd, v110
	v_add_f16_e32 v158, v198, v158
	v_mul_f16_e32 v198, 0x3bb2, v149
	v_fma_f16 v199, v118, 0xb461, -v198
	v_fmac_f16_e32 v198, 0xb461, v118
	v_add_f16_e32 v158, v199, v158
	v_mul_f16_e32 v199, 0xbbb2, v111
	v_fmamk_f16 v200, v140, 0xb461, v199
	v_add_f16_e32 v200, v106, v200
	v_add_f16_e32 v200, v202, v200
	v_mul_f16_e32 v202, 0x35c8, v150
	v_fma_f16 v203, v120, 0x3b76, -v202
	v_fmac_f16_e32 v202, 0x3b76, v120
	v_add_f16_e32 v158, v203, v158
	v_mul_f16_e32 v203, 0x3964, v123
	v_fmamk_f16 v204, v142, 0x39e9, v203
	v_add_f16_e32 v200, v204, v200
	v_mul_f16_e32 v204, 0xbb29, v151
	v_fma_f16 v205, v125, 0x3722, -v204
	v_fmac_f16_e32 v204, 0x3722, v125
	v_add_f16_e32 v158, v205, v158
	v_mul_f16_e32 v205, 0xbb29, v126
	v_fmamk_f16 v206, v143, 0x3722, v205
	;; [unrolled: 7-line block ×4, first 2 shown]
	v_add_f16_e32 v200, v210, v200
	v_mul_f16_e32 v210, 0x3964, v139
	v_fmamk_f16 v211, v147, 0x39e9, v210
	v_add_f16_e32 v184, v211, v184
	v_mul_f16_e32 v211, 0x3964, v154
	v_fma_f16 v212, v132, 0x39e9, -v211
	v_fmac_f16_e32 v211, 0x39e9, v132
	v_add_f16_e32 v158, v212, v158
	v_mul_f16_e32 v212, 0xb5c8, v138
	v_fmamk_f16 v213, v146, 0x3b76, v212
	v_add_f16_e32 v200, v213, v200
	v_mul_f16_e32 v213, 0x3836, v148
	v_fma_f16 v214, v110, 0xbacd, -v213
	v_fmac_f16_e32 v213, 0xbacd, v110
	v_add_f16_e32 v157, v214, v157
	v_mul_f16_e32 v214, 0x3964, v149
	v_add_f16_e32 v38, v213, v38
	v_fma_f16 v215, v118, 0x39e9, -v214
	v_fmac_f16_e32 v214, 0x39e9, v118
	s_waitcnt vmcnt(0)
	v_sub_f16_e32 v100, v29, v101
	buffer_load_dword v29, off, s[16:19], 0 offset:20 ; 4-byte Folded Reload
	v_add_f16_e32 v157, v215, v157
	v_mul_f16_e32 v215, 0xba62, v111
	v_add_f16_e32 v38, v214, v38
	v_mul_f16_e32 v101, 0xbbdd, v132
	v_fmamk_f16 v216, v140, 0xb8d2, v215
	v_add_f16_e32 v216, v106, v216
	v_add_f16_e32 v216, v218, v216
	v_mul_f16_e32 v218, 0xbb29, v150
	v_fma_f16 v219, v120, 0x3722, -v218
	v_fmac_f16_e32 v218, 0x3722, v120
	v_add_f16_e32 v157, v219, v157
	v_mul_f16_e32 v219, 0xb5c8, v123
	v_add_f16_e32 v38, v218, v38
	v_fmamk_f16 v220, v142, 0x3b76, v219
	v_add_f16_e32 v216, v220, v216
	v_mul_f16_e32 v220, 0xb1e1, v151
	v_fma_f16 v221, v125, 0xbbdd, -v220
	v_fmac_f16_e32 v220, 0xbbdd, v125
	v_add_f16_e32 v157, v221, v157
	v_mul_f16_e32 v221, 0xb836, v126
	v_add_f16_e32 v38, v220, v38
	v_fmamk_f16 v222, v143, 0xbacd, v221
	;; [unrolled: 8-line block ×4, first 2 shown]
	v_add_f16_e32 v216, v226, v216
	v_mul_f16_e32 v226, 0xba62, v139
	v_fmamk_f16 v227, v147, 0xb8d2, v226
	v_add_f16_e32 v200, v227, v200
	v_mul_f16_e32 v227, 0xba62, v154
	v_fma_f16 v228, v132, 0xb8d2, -v227
	v_fmac_f16_e32 v227, 0xb8d2, v132
	v_add_f16_e32 v157, v228, v157
	v_mul_f16_e32 v228, 0xb1e1, v138
	v_add_f16_e32 v38, v227, v38
	v_fmamk_f16 v229, v146, 0xbbdd, v228
	v_add_f16_e32 v216, v229, v216
	v_mul_f16_e32 v229, 0x3bb2, v148
	v_fma_f16 v230, v110, 0xb461, -v229
	v_fmac_f16_e32 v229, 0xb461, v110
	v_add_f16_e32 v42, v230, v42
	v_mul_f16_e32 v230, 0xb5c8, v149
	v_add_f16_e32 v39, v229, v39
	v_fma_f16 v231, v118, 0x3b76, -v230
	v_fmac_f16_e32 v230, 0x3b76, v118
	v_add_f16_e32 v42, v231, v42
	v_mul_f16_e32 v231, 0xb836, v111
	v_add_f16_e32 v39, v230, v39
	v_fmamk_f16 v232, v140, 0xbacd, v231
	v_add_f16_e32 v232, v106, v232
	v_add_f16_e32 v232, v234, v232
	v_mul_f16_e32 v234, 0xb836, v150
	v_fma_f16 v235, v120, 0xbacd, -v234
	v_fmac_f16_e32 v234, 0xbacd, v120
	v_add_f16_e32 v42, v235, v42
	v_mul_f16_e32 v235, 0xbbf7, v123
	v_add_f16_e32 v39, v234, v39
	v_fmamk_f16 v236, v142, 0x2de8, v235
	v_add_f16_e32 v232, v236, v232
	v_mul_f16_e32 v236, 0x3bf7, v151
	v_fma_f16 v237, v125, 0x2de8, -v236
	v_fmac_f16_e32 v236, 0x2de8, v125
	v_add_f16_e32 v42, v237, v42
	v_mul_f16_e32 v237, 0x3a62, v126
	v_add_f16_e32 v39, v236, v39
	v_fmamk_f16 v238, v143, 0xb8d2, v237
	;; [unrolled: 8-line block ×4, first 2 shown]
	v_add_f16_e32 v232, v242, v232
	v_mul_f16_e32 v242, 0x3b29, v139
	v_fmamk_f16 v243, v147, 0x3722, v242
	v_add_f16_e32 v216, v243, v216
	v_mul_f16_e32 v243, 0x3b29, v154
	v_fma_f16 v244, v132, 0x3722, -v243
	v_fmac_f16_e32 v243, 0x3722, v132
	v_add_f16_e32 v42, v244, v42
	v_mul_f16_e32 v244, 0x3964, v138
	v_add_f16_e32 v39, v243, v39
	v_fmamk_f16 v245, v146, 0x39e9, v244
	v_add_f16_e32 v232, v245, v232
	v_mul_f16_e32 v245, 0xbbb2, v139
	v_fmamk_f16 v246, v147, 0xb461, v245
	v_add_f16_e32 v232, v246, v232
	v_mul_f16_e32 v246, 0x3b29, v148
	v_fma_f16 v247, v110, 0x3722, -v246
	v_fmac_f16_e32 v246, 0x3722, v110
	v_add_f16_e32 v41, v247, v41
	v_mul_f16_e32 v247, 0xbbf7, v149
	v_add_f16_e32 v37, v246, v37
	v_fma_f16 v248, v118, 0x2de8, -v247
	v_fmac_f16_e32 v247, 0x2de8, v118
	v_add_f16_e32 v41, v248, v41
	v_mul_f16_e32 v248, 0x3a62, v150
	v_add_f16_e32 v37, v247, v37
	;; [unrolled: 5-line block ×6, first 2 shown]
	v_fma_f16 v253, v132, 0xb461, -v252
	v_fmac_f16_e32 v252, 0xb461, v132
	v_add_f16_e32 v41, v253, v41
	v_mul_f16_e32 v253, 0xb1e1, v111
	v_fma_f16 v111, v147, 0x3b76, -v180
	v_add_f16_e32 v37, v252, v37
	v_mov_b32_e32 v180, v62
	v_mov_b32_e32 v62, v76
	v_fmamk_f16 v254, v140, 0xbbdd, v253
	v_mov_b32_e32 v76, v85
	v_mov_b32_e32 v85, v119
	v_add_f16_e32 v254, v106, v254
	v_add_f16_e32 v47, v47, v254
	v_mul_f16_e32 v254, 0xb836, v123
	v_fmamk_f16 v43, v142, 0xbacd, v254
	v_add_f16_e32 v43, v43, v47
	v_mul_f16_e32 v47, 0x3964, v126
	v_fmamk_f16 v45, v143, 0x39e9, v47
	v_fma_f16 v47, v143, 0x39e9, -v47
	v_add_f16_e32 v43, v45, v43
	v_mul_f16_e32 v45, 0xba62, v133
	v_fmamk_f16 v46, v144, 0xb8d2, v45
	v_fma_f16 v45, v144, 0xb8d2, -v45
	;; [unrolled: 4-line block ×3, first 2 shown]
	v_add_f16_e32 v43, v59, v43
	v_mul_f16_e32 v59, 0xbbb2, v138
	v_fmamk_f16 v60, v146, 0xb461, v59
	v_add_f16_e32 v43, v60, v43
	v_mul_f16_e32 v60, 0x3bf7, v139
	v_fmamk_f16 v61, v147, 0x2de8, v60
	v_add_f16_e32 v43, v61, v43
	v_mul_f16_e32 v61, 0x35c8, v148
	v_fma_f16 v148, v110, 0x3b76, -v61
	v_fmac_f16_e32 v61, 0x3b76, v110
	v_add_f16_e32 v40, v148, v40
	v_mul_f16_e32 v148, 0xb836, v149
	v_fma_f16 v149, v118, 0xbacd, -v148
	v_fmac_f16_e32 v148, 0xbacd, v118
	;; [unrolled: 4-line block ×7, first 2 shown]
	v_add_f16_e32 v40, v154, v40
	v_fma_f16 v154, v140, 0xbbdd, -v253
	v_fma_f16 v253, v141, 0x3b76, -v255
	v_add_f16_e32 v154, v106, v154
	v_add_f16_e32 v154, v253, v154
	v_fma_f16 v253, v142, 0xbacd, -v254
	v_add_f16_e32 v154, v253, v154
	v_add_f16_e32 v47, v47, v154
	;; [unrolled: 1-line block ×3, first 2 shown]
	v_fma_f16 v47, v140, 0xbacd, -v231
	v_add_f16_e32 v45, v46, v45
	v_fma_f16 v46, v146, 0xb461, -v59
	v_add_f16_e32 v47, v106, v47
	;; [unrolled: 2-line block ×4, first 2 shown]
	v_fma_f16 v59, v142, 0x2de8, -v235
	v_fma_f16 v60, v141, 0xb461, -v217
	v_add_f16_e32 v45, v46, v45
	v_add_f16_e32 v46, v61, v160
	;; [unrolled: 1-line block ×3, first 2 shown]
	v_fma_f16 v59, v143, 0xb8d2, -v237
	v_fma_f16 v61, v141, 0xbacd, -v201
	v_add_f16_e32 v46, v148, v46
	v_fma_f16 v148, v141, 0xbbdd, -v185
	v_add_f16_e32 v47, v59, v47
	v_fma_f16 v59, v144, 0x3b76, -v239
	v_mov_b32_e32 v185, v80
	v_add_f16_e32 v46, v149, v46
	v_fma_f16 v149, v144, 0x3722, -v191
	v_mov_b32_e32 v80, v112
	v_add_f16_e32 v47, v59, v47
	v_fma_f16 v59, v145, 0xbbdd, -v241
	v_add_f16_e32 v46, v150, v46
	v_fma_f16 v150, v141, 0xb8d2, -v172
	v_fma_f16 v141, v141, 0x2de8, -v164
	v_add_f16_e32 v47, v59, v47
	v_fma_f16 v59, v140, 0xb8d2, -v215
	v_add_f16_e32 v46, v151, v46
	v_fma_f16 v151, v146, 0x2de8, -v181
	v_mov_b32_e32 v181, v63
	v_mov_b32_e32 v63, v77
	v_add_f16_e32 v59, v106, v59
	v_add_f16_e32 v46, v152, v46
	v_mov_b32_e32 v77, v86
	v_mov_b32_e32 v86, v121
	v_add_f16_e32 v59, v60, v59
	v_fma_f16 v60, v142, 0x3b76, -v219
	v_add_f16_e32 v46, v153, v46
	v_add_f16_e32 v59, v60, v59
	v_fma_f16 v60, v146, 0x39e9, -v244
	v_add_f16_e32 v47, v60, v47
	v_fma_f16 v60, v143, 0xbacd, -v221
	;; [unrolled: 2-line block ×4, first 2 shown]
	v_pack_b32_f16 v37, v37, v47
	v_add_f16_e32 v59, v60, v59
	v_fma_f16 v60, v145, 0x39e9, -v225
	v_add_f16_e32 v59, v60, v59
	v_fma_f16 v60, v146, 0xbbdd, -v228
	;; [unrolled: 2-line block ×4, first 2 shown]
	v_pack_b32_f16 v39, v39, v59
	v_add_f16_e32 v60, v106, v60
	v_add_f16_e32 v60, v61, v60
	v_fma_f16 v61, v142, 0x39e9, -v203
	v_add_f16_e32 v60, v61, v60
	v_fma_f16 v61, v143, 0x3722, -v205
	;; [unrolled: 2-line block ×6, first 2 shown]
	v_mov_b32_e32 v183, v65
	v_mov_b32_e32 v65, v74
	;; [unrolled: 1-line block ×4, first 2 shown]
	v_add_f16_e32 v61, v106, v61
	v_add_f16_e32 v61, v148, v61
	v_fma_f16 v148, v147, 0xb8d2, -v226
	v_add_f16_e32 v60, v148, v60
	v_fma_f16 v148, v142, 0xb461, -v187
	v_mov_b32_e32 v187, v83
	v_mov_b32_e32 v83, v116
	v_add_f16_e32 v61, v148, v61
	v_fma_f16 v148, v143, 0x3b76, -v189
	v_add_f16_e32 v61, v148, v61
	v_add_f16_e32 v148, v197, v161
	;; [unrolled: 1-line block ×3, first 2 shown]
	v_fma_f16 v149, v140, 0x3722, -v171
	v_fma_f16 v140, v140, 0x39e9, -v155
	v_add_f16_e32 v148, v198, v148
	v_add_f16_e32 v149, v106, v149
	;; [unrolled: 1-line block ×3, first 2 shown]
	v_mul_f16_e32 v106, 0x3722, v118
	v_add_f16_e32 v148, v202, v148
	v_add_f16_e32 v149, v150, v149
	v_fma_f16 v150, v145, 0xbacd, -v193
	v_add_f16_e32 v99, v106, v127
	v_add_f16_e32 v140, v141, v140
	v_fma_f16 v141, v142, 0xb8d2, -v165
	v_add_f16_e32 v148, v204, v148
	v_add_f16_e32 v61, v150, v61
	;; [unrolled: 1-line block ×3, first 2 shown]
	v_mul_f16_e32 v99, 0xbbb2, v133
	v_fma_f16 v150, v142, 0xbbdd, -v174
	v_add_f16_e32 v140, v141, v140
	v_fma_f16 v141, v143, 0xbbdd, -v166
	v_add_f16_e32 v35, v104, v35
	v_sub_f16_e32 v99, v30, v99
	v_mul_f16_e32 v104, 0xba62, v136
	buffer_load_dword v30, off, s[16:19], 0 offset:16 ; 4-byte Folded Reload
	v_add_f16_e32 v149, v150, v149
	v_add_f16_e32 v35, v102, v35
	;; [unrolled: 1-line block ×3, first 2 shown]
	v_mul_f16_e32 v99, 0xb8d2, v128
	v_sub_f16_e32 v103, v31, v104
	v_mul_f16_e32 v102, 0xbacd, v129
	v_fma_f16 v150, v146, 0xb8d2, -v196
	v_add_f16_e32 v140, v141, v140
	v_add_f16_e32 v99, v99, v87
	;; [unrolled: 1-line block ×3, first 2 shown]
	v_fma_f16 v141, v144, 0xbacd, -v167
	v_add_f16_e32 v61, v150, v61
	v_fma_f16 v150, v143, 0xb461, -v176
	v_add_f16_e32 v35, v99, v35
	v_add_f16_e32 v99, v102, v137
	v_mul_f16_e32 v102, 0xb1e1, v139
	v_add_f16_e32 v97, v100, v98
	v_add_f16_e32 v149, v150, v149
	v_fma_f16 v150, v147, 0x39e9, -v210
	v_add_f16_e32 v143, v168, v163
	s_waitcnt vmcnt(1)
	v_sub_f16_e32 v98, v29, v102
	buffer_load_dword v29, off, s[16:19], 0 offset:4 ; 4-byte Folded Reload
	v_add_f16_e32 v140, v141, v140
	v_add_f16_e32 v61, v150, v61
	v_fma_f16 v150, v144, 0x39e9, -v178
	v_add_f16_e32 v143, v169, v143
	v_fma_f16 v141, v145, 0xb461, -v156
	v_add_f16_e32 v148, v206, v148
	v_add_f16_e32 v35, v99, v35
	v_add_f16_e32 v149, v150, v149
	v_fma_f16 v150, v145, 0x3b76, -v179
	v_add_f16_e32 v143, v173, v143
	v_add_f16_e32 v140, v141, v140
	v_fma_f16 v141, v146, 0x3722, -v170
	v_add_f16_e32 v148, v208, v148
	v_add_f16_e32 v149, v150, v149
	;; [unrolled: 1-line block ×9, first 2 shown]
	v_fma_f16 v151, v147, 0xbacd, -v194
	v_mov_b32_e32 v182, v64
	v_mov_b32_e32 v64, v71
	v_add_f16_e32 v150, v186, v150
	v_add_f16_e32 v33, v33, v109
	;; [unrolled: 1-line block ×3, first 2 shown]
	v_mov_b32_e32 v71, v75
	v_mov_b32_e32 v75, v14
	v_add_f16_e32 v142, v188, v150
	v_add_f16_e32 v32, v32, v33
	v_mov_b32_e32 v14, v84
	v_mov_b32_e32 v84, v117
	;; [unrolled: 1-line block ×3, first 2 shown]
	v_add_f16_e32 v142, v190, v142
	v_mov_b32_e32 v81, v113
	v_add_f16_e32 v142, v192, v142
	v_add_f16_e32 v105, v195, v142
	s_waitcnt vmcnt(0)
	v_add_f16_e32 v27, v27, v29
	v_add_f16_e32 v29, v96, v95
	;; [unrolled: 1-line block ×7, first 2 shown]
	v_mul_lo_u16 v35, v48, 17
	v_mov_b32_e32 v94, 2
	v_add_f16_e32 v27, v90, v27
	v_add_f16_e32 v28, v91, v28
	;; [unrolled: 1-line block ×3, first 2 shown]
	v_pack_b32_f16 v29, v29, v96
	v_lshlrev_b32_sdwa v33, v94, v35 dst_sel:DWORD dst_unused:UNUSED_PAD src0_sel:DWORD src1_sel:WORD_0
	v_pack_b32_f16 v35, v38, v60
	v_pack_b32_f16 v27, v27, v28
	;; [unrolled: 1-line block ×5, first 2 shown]
	ds_write2_b32 v33, v27, v29 offset1:1
	ds_write2_b32 v33, v32, v28 offset0:2 offset1:3
	ds_write2_b32 v33, v38, v35 offset0:4 offset1:5
	;; [unrolled: 1-line block ×3, first 2 shown]
	v_pack_b32_f16 v35, v158, v184
	v_mov_b32_e32 v184, v78
	s_clause 0x2
	buffer_load_dword v78, off, s[16:19], 0
	buffer_load_dword v30, off, s[16:19], 0 offset:8
	buffer_load_dword v31, off, s[16:19], 0 offset:12
	v_pack_b32_f16 v27, v40, v43
	v_pack_b32_f16 v28, v46, v45
	;; [unrolled: 1-line block ×5, first 2 shown]
	s_waitcnt vmcnt(0)
	v_pack_b32_f16 v30, v31, v30
	v_pack_b32_f16 v31, v36, v34
	v_perm_b32 v34, v93, v92, 0x5040100
	ds_write2_b32 v33, v28, v27 offset0:8 offset1:9
	ds_write2_b32 v33, v32, v29 offset0:10 offset1:11
	;; [unrolled: 1-line block ×4, first 2 shown]
	ds_write_b32 v33, v34 offset:64
.LBB0_17:
	s_or_b32 exec_lo, exec_lo, s1
	v_add_nc_u32_e32 v43, 0xc00, v49
	s_waitcnt lgkmcnt(0)
	s_waitcnt_vscnt null, 0x0
	s_barrier
	buffer_gl0_inv
	v_add_nc_u32_e32 v45, 0x200, v49
	ds_read2_b32 v[29:30], v43 offset0:48 offset1:150
	v_add_nc_u32_e32 v46, 0xe00, v49
	v_add_nc_u32_e32 v47, 0x400, v49
	ds_read2_b32 v[27:28], v49 offset1:102
	ds_read2_b32 v[31:32], v45 offset0:76 offset1:178
	ds_read2_b32 v[33:34], v46 offset0:124 offset1:226
	;; [unrolled: 1-line block ×3, first 2 shown]
	v_add_nc_u32_e32 v59, 0x1200, v49
	v_add_nc_u32_e32 v60, 0x800, v49
	;; [unrolled: 1-line block ×3, first 2 shown]
	ds_read2_b32 v[37:38], v59 offset0:72 offset1:174
	ds_read2_b32 v[39:40], v60 offset0:100 offset1:202
	;; [unrolled: 1-line block ×3, first 2 shown]
	s_waitcnt lgkmcnt(0)
	s_barrier
	buffer_gl0_inv
	v_lshrrev_b32_e32 v94, 16, v29
	v_lshrrev_b32_e32 v95, 16, v30
	v_mul_f16_sdwa v107, v57, v29 dst_sel:DWORD dst_unused:UNUSED_PAD src0_sel:WORD_1 src1_sel:DWORD
	v_lshrrev_b32_e32 v90, 16, v27
	v_lshrrev_b32_e32 v97, 16, v33
	v_mul_f16_sdwa v105, v57, v94 dst_sel:DWORD dst_unused:UNUSED_PAD src0_sel:WORD_1 src1_sel:DWORD
	v_lshrrev_b32_e32 v99, 16, v34
	v_mul_f16_sdwa v110, v56, v33 dst_sel:DWORD dst_unused:UNUSED_PAD src0_sel:WORD_1 src1_sel:DWORD
	v_lshrrev_b32_e32 v91, 16, v28
	v_lshrrev_b32_e32 v96, 16, v31
	v_fmac_f16_e32 v105, v57, v29
	v_mul_f16_sdwa v29, v55, v95 dst_sel:DWORD dst_unused:UNUSED_PAD src0_sel:WORD_1 src1_sel:DWORD
	v_fma_f16 v57, v57, v94, -v107
	v_mul_f16_sdwa v107, v56, v97 dst_sel:DWORD dst_unused:UNUSED_PAD src0_sel:WORD_1 src1_sel:DWORD
	v_lshrrev_b32_e32 v101, 16, v37
	v_lshrrev_b32_e32 v103, 16, v38
	v_mul_f16_sdwa v94, v55, v30 dst_sel:DWORD dst_unused:UNUSED_PAD src0_sel:WORD_1 src1_sel:DWORD
	v_fmac_f16_e32 v29, v55, v30
	v_mul_f16_sdwa v30, v54, v99 dst_sel:DWORD dst_unused:UNUSED_PAD src0_sel:WORD_1 src1_sel:DWORD
	v_fmac_f16_e32 v107, v56, v33
	v_fma_f16 v33, v56, v97, -v110
	v_mul_f16_sdwa v56, v54, v34 dst_sel:DWORD dst_unused:UNUSED_PAD src0_sel:WORD_1 src1_sel:DWORD
	v_lshrrev_b32_e32 v106, 16, v41
	v_lshrrev_b32_e32 v109, 16, v42
	v_fma_f16 v55, v55, v95, -v94
	v_fmac_f16_e32 v30, v54, v34
	v_mul_f16_sdwa v34, v53, v101 dst_sel:DWORD dst_unused:UNUSED_PAD src0_sel:WORD_1 src1_sel:DWORD
	v_mul_f16_sdwa v94, v53, v37 dst_sel:DWORD dst_unused:UNUSED_PAD src0_sel:WORD_1 src1_sel:DWORD
	;; [unrolled: 1-line block ×3, first 2 shown]
	v_fma_f16 v54, v54, v99, -v56
	v_mul_f16_sdwa v56, v52, v38 dst_sel:DWORD dst_unused:UNUSED_PAD src0_sel:WORD_1 src1_sel:DWORD
	v_fmac_f16_e32 v34, v53, v37
	v_fma_f16 v37, v53, v101, -v94
	v_fmac_f16_e32 v95, v52, v38
	v_mul_f16_sdwa v38, v51, v106 dst_sel:DWORD dst_unused:UNUSED_PAD src0_sel:WORD_1 src1_sel:DWORD
	v_fma_f16 v52, v52, v103, -v56
	v_mul_f16_sdwa v56, v50, v109 dst_sel:DWORD dst_unused:UNUSED_PAD src0_sel:WORD_1 src1_sel:DWORD
	v_mul_f16_sdwa v94, v50, v42 dst_sel:DWORD dst_unused:UNUSED_PAD src0_sel:WORD_1 src1_sel:DWORD
	;; [unrolled: 1-line block ×3, first 2 shown]
	v_lshrrev_b32_e32 v98, 16, v32
	v_fmac_f16_e32 v38, v51, v41
	v_sub_f16_e32 v41, v27, v105
	v_fmac_f16_e32 v56, v50, v42
	v_fma_f16 v42, v50, v109, -v94
	v_sub_f16_e32 v50, v90, v57
	v_lshrrev_b32_e32 v100, 16, v35
	v_fma_f16 v51, v51, v106, -v53
	v_sub_f16_e32 v29, v28, v29
	v_sub_f16_e32 v53, v91, v55
	v_lshrrev_b32_e32 v102, 16, v36
	v_sub_f16_e32 v55, v31, v107
	v_sub_f16_e32 v33, v96, v33
	v_lshrrev_b32_e32 v104, 16, v39
	v_lshrrev_b32_e32 v108, 16, v40
	v_fma_f16 v27, v27, 2.0, -v41
	v_fma_f16 v57, v90, 2.0, -v50
	v_sub_f16_e32 v30, v32, v30
	v_sub_f16_e32 v54, v98, v54
	v_fma_f16 v28, v28, 2.0, -v29
	v_fma_f16 v90, v91, 2.0, -v53
	v_sub_f16_e32 v34, v35, v34
	v_sub_f16_e32 v37, v100, v37
	;; [unrolled: 4-line block ×3, first 2 shown]
	v_sub_f16_e32 v38, v39, v38
	v_sub_f16_e32 v51, v104, v51
	;; [unrolled: 1-line block ×4, first 2 shown]
	v_fma_f16 v32, v32, 2.0, -v30
	v_fma_f16 v95, v98, 2.0, -v54
	v_pack_b32_f16 v27, v27, v57
	v_pack_b32_f16 v41, v41, v50
	v_fma_f16 v35, v35, 2.0, -v34
	v_fma_f16 v96, v100, 2.0, -v37
	v_pack_b32_f16 v28, v28, v90
	v_pack_b32_f16 v29, v29, v53
	;; [unrolled: 4-line block ×3, first 2 shown]
	v_fma_f16 v39, v39, 2.0, -v38
	v_fma_f16 v98, v104, 2.0, -v51
	;; [unrolled: 1-line block ×4, first 2 shown]
	ds_write2_b32 v185, v27, v41 offset1:17
	ds_write2_b32 v186, v28, v29 offset1:17
	;; [unrolled: 1-line block ×3, first 2 shown]
	v_pack_b32_f16 v27, v32, v95
	v_pack_b32_f16 v28, v30, v54
	;; [unrolled: 1-line block ×10, first 2 shown]
	ds_write2_b32 v64, v27, v28 offset1:17
	ds_write2_b32 v65, v29, v30 offset1:17
	;; [unrolled: 1-line block ×5, first 2 shown]
	s_waitcnt lgkmcnt(0)
	s_barrier
	buffer_gl0_inv
	ds_read2_b32 v[27:28], v49 offset1:102
	ds_read2_b32 v[29:30], v43 offset0:48 offset1:150
	ds_read2_b32 v[31:32], v45 offset0:76 offset1:178
	;; [unrolled: 1-line block ×7, first 2 shown]
	s_waitcnt lgkmcnt(0)
	s_barrier
	buffer_gl0_inv
	v_lshrrev_b32_e32 v46, 16, v27
	v_lshrrev_b32_e32 v47, 16, v29
	;; [unrolled: 1-line block ×4, first 2 shown]
	v_mul_f16_sdwa v71, v79, v29 dst_sel:DWORD dst_unused:UNUSED_PAD src0_sel:WORD_1 src1_sel:DWORD
	v_lshrrev_b32_e32 v55, 16, v34
	v_mul_f16_sdwa v64, v79, v47 dst_sel:DWORD dst_unused:UNUSED_PAD src0_sel:WORD_1 src1_sel:DWORD
	v_mul_f16_sdwa v94, v73, v33 dst_sel:DWORD dst_unused:UNUSED_PAD src0_sel:WORD_1 src1_sel:DWORD
	v_lshrrev_b32_e32 v57, 16, v37
	v_fma_f16 v47, v79, v47, -v71
	v_lshrrev_b32_e32 v62, 16, v38
	v_fmac_f16_e32 v64, v79, v29
	v_mul_f16_sdwa v29, v72, v51 dst_sel:DWORD dst_unused:UNUSED_PAD src0_sel:WORD_1 src1_sel:DWORD
	v_mul_f16_sdwa v79, v73, v53 dst_sel:DWORD dst_unused:UNUSED_PAD src0_sel:WORD_1 src1_sel:DWORD
	;; [unrolled: 1-line block ×3, first 2 shown]
	v_lshrrev_b32_e32 v65, 16, v41
	v_lshrrev_b32_e32 v91, 16, v42
	v_fmac_f16_e32 v29, v72, v30
	v_mul_f16_sdwa v30, v70, v55 dst_sel:DWORD dst_unused:UNUSED_PAD src0_sel:WORD_1 src1_sel:DWORD
	v_fmac_f16_e32 v79, v73, v33
	v_fma_f16 v33, v73, v53, -v94
	v_mul_f16_sdwa v53, v70, v34 dst_sel:DWORD dst_unused:UNUSED_PAD src0_sel:WORD_1 src1_sel:DWORD
	v_fma_f16 v51, v72, v51, -v71
	v_fmac_f16_e32 v30, v70, v34
	v_mul_f16_sdwa v34, v69, v57 dst_sel:DWORD dst_unused:UNUSED_PAD src0_sel:WORD_1 src1_sel:DWORD
	v_mul_f16_sdwa v71, v69, v37 dst_sel:DWORD dst_unused:UNUSED_PAD src0_sel:WORD_1 src1_sel:DWORD
	;; [unrolled: 1-line block ×3, first 2 shown]
	v_fma_f16 v53, v70, v55, -v53
	v_mul_f16_sdwa v55, v68, v38 dst_sel:DWORD dst_unused:UNUSED_PAD src0_sel:WORD_1 src1_sel:DWORD
	v_lshrrev_b32_e32 v50, 16, v28
	v_lshrrev_b32_e32 v52, 16, v31
	v_fmac_f16_e32 v34, v69, v37
	v_fma_f16 v37, v69, v57, -v71
	v_fmac_f16_e32 v72, v68, v38
	v_mul_f16_sdwa v38, v67, v65 dst_sel:DWORD dst_unused:UNUSED_PAD src0_sel:WORD_1 src1_sel:DWORD
	v_mul_f16_sdwa v57, v67, v41 dst_sel:DWORD dst_unused:UNUSED_PAD src0_sel:WORD_1 src1_sel:DWORD
	v_fma_f16 v55, v68, v62, -v55
	v_mul_f16_sdwa v62, v66, v91 dst_sel:DWORD dst_unused:UNUSED_PAD src0_sel:WORD_1 src1_sel:DWORD
	v_mul_f16_sdwa v68, v66, v42 dst_sel:DWORD dst_unused:UNUSED_PAD src0_sel:WORD_1 src1_sel:DWORD
	v_lshrrev_b32_e32 v54, 16, v32
	v_sub_f16_e32 v64, v27, v64
	v_sub_f16_e32 v47, v46, v47
	v_lshrrev_b32_e32 v56, 16, v35
	v_sub_f16_e32 v29, v28, v29
	v_sub_f16_e32 v51, v50, v51
	v_lshrrev_b32_e32 v59, 16, v36
	v_fmac_f16_e32 v38, v67, v41
	v_fma_f16 v41, v67, v65, -v57
	v_sub_f16_e32 v57, v31, v79
	v_sub_f16_e32 v33, v52, v33
	v_lshrrev_b32_e32 v63, 16, v39
	v_lshrrev_b32_e32 v90, 16, v40
	v_fmac_f16_e32 v62, v66, v42
	v_fma_f16 v42, v66, v91, -v68
	v_fma_f16 v27, v27, 2.0, -v64
	v_fma_f16 v46, v46, 2.0, -v47
	v_sub_f16_e32 v30, v32, v30
	v_sub_f16_e32 v53, v54, v53
	v_fma_f16 v28, v28, 2.0, -v29
	v_fma_f16 v50, v50, 2.0, -v51
	v_sub_f16_e32 v34, v35, v34
	v_sub_f16_e32 v37, v56, v37
	;; [unrolled: 4-line block ×3, first 2 shown]
	v_sub_f16_e32 v38, v39, v38
	v_sub_f16_e32 v66, v63, v41
	v_sub_f16_e32 v41, v40, v62
	v_sub_f16_e32 v42, v90, v42
	v_fma_f16 v32, v32, 2.0, -v30
	v_fma_f16 v54, v54, 2.0, -v53
	v_pack_b32_f16 v27, v27, v46
	v_pack_b32_f16 v46, v64, v47
	v_fma_f16 v35, v35, 2.0, -v34
	v_fma_f16 v56, v56, 2.0, -v37
	v_pack_b32_f16 v28, v28, v50
	v_pack_b32_f16 v29, v29, v51
	;; [unrolled: 4-line block ×3, first 2 shown]
	v_fma_f16 v39, v39, 2.0, -v38
	v_fma_f16 v62, v63, 2.0, -v66
	v_fma_f16 v40, v40, 2.0, -v41
	v_fma_f16 v63, v90, 2.0, -v42
	ds_write2_b32 v78, v27, v46 offset1:34
	ds_write2_b32 v81, v28, v29 offset1:34
	ds_write2_b32 v80, v31, v33 offset1:34
	v_pack_b32_f16 v27, v32, v54
	v_pack_b32_f16 v28, v30, v53
	;; [unrolled: 1-line block ×10, first 2 shown]
	ds_write2_b32 v74, v27, v28 offset1:34
	ds_write2_b32 v75, v29, v30 offset1:34
	;; [unrolled: 1-line block ×5, first 2 shown]
	v_add_nc_u32_e32 v27, 0x600, v49
	v_add_nc_u32_e32 v29, 0x1000, v49
	s_waitcnt lgkmcnt(0)
	s_barrier
	buffer_gl0_inv
	ds_read2_b32 v[31:32], v49 offset1:102
	ds_read2_b32 v[27:28], v27 offset0:24 offset1:160
	ds_read2_b32 v[39:40], v29 offset0:64 offset1:166
	;; [unrolled: 1-line block ×6, first 2 shown]
	ds_read_b32 v50, v49 offset:5984
	s_and_saveexec_b32 s1, s0
	s_cbranch_execz .LBB0_19
; %bb.18:
	ds_read_b32 v41, v49 offset:2040
	ds_read_b32 v92, v49 offset:4216
	;; [unrolled: 1-line block ×3, first 2 shown]
	s_waitcnt lgkmcnt(2)
	v_lshrrev_b32_e32 v42, 16, v41
	s_waitcnt lgkmcnt(1)
	v_lshrrev_b32_e32 v93, 16, v92
	;; [unrolled: 2-line block ×3, first 2 shown]
.LBB0_19:
	s_or_b32 exec_lo, exec_lo, s1
	s_waitcnt lgkmcnt(6)
	v_lshrrev_b32_e32 v45, 16, v28
	s_waitcnt lgkmcnt(5)
	v_lshrrev_b32_e32 v46, 16, v39
	;; [unrolled: 2-line block ×3, first 2 shown]
	v_mul_f16_sdwa v63, v21, v28 dst_sel:DWORD dst_unused:UNUSED_PAD src0_sel:WORD_1 src1_sel:DWORD
	v_lshrrev_b32_e32 v52, 16, v40
	v_mul_f16_sdwa v61, v21, v45 dst_sel:DWORD dst_unused:UNUSED_PAD src0_sel:WORD_1 src1_sel:DWORD
	v_mul_f16_sdwa v65, v22, v46 dst_sel:DWORD dst_unused:UNUSED_PAD src0_sel:WORD_1 src1_sel:DWORD
	v_lshrrev_b32_e32 v54, 16, v38
	s_waitcnt lgkmcnt(2)
	v_lshrrev_b32_e32 v55, 16, v35
	s_waitcnt lgkmcnt(1)
	v_lshrrev_b32_e32 v57, 16, v33
	v_fmac_f16_e32 v61, v21, v28
	v_mul_f16_sdwa v28, v22, v39 dst_sel:DWORD dst_unused:UNUSED_PAD src0_sel:WORD_1 src1_sel:DWORD
	v_fma_f16 v21, v21, v45, -v63
	v_mul_f16_sdwa v45, v25, v51 dst_sel:DWORD dst_unused:UNUSED_PAD src0_sel:WORD_1 src1_sel:DWORD
	v_fmac_f16_e32 v65, v22, v39
	v_mul_f16_sdwa v39, v25, v37 dst_sel:DWORD dst_unused:UNUSED_PAD src0_sel:WORD_1 src1_sel:DWORD
	v_fma_f16 v22, v22, v46, -v28
	v_mul_f16_sdwa v28, v26, v52 dst_sel:DWORD dst_unused:UNUSED_PAD src0_sel:WORD_1 src1_sel:DWORD
	;; [unrolled: 4-line block ×4, first 2 shown]
	v_lshrrev_b32_e32 v59, 16, v36
	v_fmac_f16_e32 v39, v23, v38
	v_mul_f16_sdwa v38, v24, v35 dst_sel:DWORD dst_unused:UNUSED_PAD src0_sel:WORD_1 src1_sel:DWORD
	v_lshrrev_b32_e32 v62, 16, v34
	v_fma_f16 v23, v23, v54, -v40
	v_mul_f16_sdwa v40, v19, v57 dst_sel:DWORD dst_unused:UNUSED_PAD src0_sel:WORD_1 src1_sel:DWORD
	v_fmac_f16_e32 v37, v24, v35
	v_mul_f16_sdwa v35, v19, v33 dst_sel:DWORD dst_unused:UNUSED_PAD src0_sel:WORD_1 src1_sel:DWORD
	v_fma_f16 v24, v24, v55, -v38
	v_mul_f16_sdwa v38, v20, v59 dst_sel:DWORD dst_unused:UNUSED_PAD src0_sel:WORD_1 src1_sel:DWORD
	s_waitcnt lgkmcnt(0)
	v_lshrrev_b32_e32 v64, 16, v50
	v_fmac_f16_e32 v40, v19, v33
	v_mul_f16_sdwa v33, v20, v36 dst_sel:DWORD dst_unused:UNUSED_PAD src0_sel:WORD_1 src1_sel:DWORD
	v_fma_f16 v19, v19, v57, -v35
	v_mul_f16_sdwa v35, v17, v62 dst_sel:DWORD dst_unused:UNUSED_PAD src0_sel:WORD_1 src1_sel:DWORD
	v_fmac_f16_e32 v38, v20, v36
	v_mul_f16_sdwa v36, v17, v34 dst_sel:DWORD dst_unused:UNUSED_PAD src0_sel:WORD_1 src1_sel:DWORD
	v_fma_f16 v20, v20, v59, -v33
	v_mul_f16_sdwa v33, v18, v64 dst_sel:DWORD dst_unused:UNUSED_PAD src0_sel:WORD_1 src1_sel:DWORD
	v_fmac_f16_e32 v35, v17, v34
	v_mul_f16_sdwa v34, v18, v50 dst_sel:DWORD dst_unused:UNUSED_PAD src0_sel:WORD_1 src1_sel:DWORD
	v_lshrrev_b32_e32 v43, 16, v31
	v_fma_f16 v17, v17, v62, -v36
	v_add_f16_e32 v36, v61, v65
	v_fmac_f16_e32 v33, v18, v50
	v_fma_f16 v18, v18, v64, -v34
	v_add_f16_e32 v34, v21, v22
	v_add_f16_e32 v46, v31, v61
	v_fma_f16 v31, -0.5, v36, v31
	v_sub_f16_e32 v36, v21, v22
	v_add_f16_e32 v21, v43, v21
	v_fmac_f16_e32 v43, -0.5, v34
	v_sub_f16_e32 v34, v61, v65
	v_lshrrev_b32_e32 v47, 16, v32
	v_fmamk_f16 v50, v36, 0xbaee, v31
	v_add_f16_e32 v21, v21, v22
	v_add_f16_e32 v22, v45, v28
	v_fmac_f16_e32 v31, 0x3aee, v36
	v_fmamk_f16 v36, v34, 0x3aee, v43
	v_add_f16_e32 v51, v32, v45
	v_fmac_f16_e32 v43, 0xbaee, v34
	v_add_f16_e32 v34, v25, v26
	v_fmac_f16_e32 v32, -0.5, v22
	v_sub_f16_e32 v22, v25, v26
	v_add_f16_e32 v25, v47, v25
	v_add_f16_e32 v51, v51, v28
	v_fmac_f16_e32 v47, -0.5, v34
	v_sub_f16_e32 v28, v45, v28
	v_lshrrev_b32_e32 v53, 16, v29
	v_fmamk_f16 v34, v22, 0xbaee, v32
	v_fmac_f16_e32 v32, 0x3aee, v22
	v_add_f16_e32 v22, v25, v26
	v_add_f16_e32 v25, v39, v37
	v_fmamk_f16 v26, v28, 0x3aee, v47
	v_fmac_f16_e32 v47, 0xbaee, v28
	v_add_f16_e32 v28, v23, v24
	v_add_f16_e32 v45, v29, v39
	v_fma_f16 v25, -0.5, v25, v29
	v_sub_f16_e32 v29, v23, v24
	v_add_f16_e32 v23, v53, v23
	v_fmac_f16_e32 v53, -0.5, v28
	v_sub_f16_e32 v28, v39, v37
	v_lshrrev_b32_e32 v56, 16, v30
	v_add_f16_e32 v45, v45, v37
	v_add_f16_e32 v23, v23, v24
	;; [unrolled: 1-line block ×3, first 2 shown]
	v_fmamk_f16 v37, v29, 0xbaee, v25
	v_fmac_f16_e32 v25, 0x3aee, v29
	v_fmamk_f16 v29, v28, 0x3aee, v53
	v_fmac_f16_e32 v53, 0xbaee, v28
	v_add_f16_e32 v28, v19, v20
	v_add_f16_e32 v39, v30, v40
	v_fmac_f16_e32 v30, -0.5, v24
	v_sub_f16_e32 v24, v19, v20
	v_add_f16_e32 v19, v56, v19
	v_fmac_f16_e32 v56, -0.5, v28
	v_sub_f16_e32 v28, v40, v38
	v_lshrrev_b32_e32 v60, 16, v27
	v_add_f16_e32 v39, v39, v38
	v_add_f16_e32 v19, v19, v20
	;; [unrolled: 1-line block ×3, first 2 shown]
	v_fmamk_f16 v38, v24, 0xbaee, v30
	v_fmac_f16_e32 v30, 0x3aee, v24
	v_fmamk_f16 v24, v28, 0x3aee, v56
	v_fmac_f16_e32 v56, 0xbaee, v28
	v_add_f16_e32 v28, v17, v18
	v_add_f16_e32 v46, v46, v65
	;; [unrolled: 1-line block ×3, first 2 shown]
	v_fmac_f16_e32 v27, -0.5, v20
	v_sub_f16_e32 v20, v17, v18
	v_add_f16_e32 v17, v60, v17
	v_fmac_f16_e32 v60, -0.5, v28
	v_sub_f16_e32 v28, v35, v33
	v_pack_b32_f16 v22, v51, v22
	v_fmamk_f16 v35, v20, 0xbaee, v27
	v_fmac_f16_e32 v27, 0x3aee, v20
	v_pack_b32_f16 v20, v46, v21
	v_pack_b32_f16 v21, v50, v36
	v_add_f16_e32 v17, v17, v18
	v_fmamk_f16 v18, v28, 0x3aee, v60
	v_fmac_f16_e32 v60, 0xbaee, v28
	v_pack_b32_f16 v28, v31, v43
	v_pack_b32_f16 v26, v34, v26
	v_add_f16_e32 v33, v40, v33
	v_pack_b32_f16 v31, v32, v47
	v_pack_b32_f16 v23, v45, v23
	;; [unrolled: 1-line block ×3, first 2 shown]
	s_barrier
	buffer_gl0_inv
	ds_write2_b32 v85, v20, v21 offset1:68
	ds_write_b32 v85, v28 offset:544
	ds_write2_b32 v86, v22, v26 offset1:68
	ds_write_b32 v86, v31 offset:544
	ds_write2_b32 v84, v23, v29 offset1:68
	v_pack_b32_f16 v20, v25, v53
	v_pack_b32_f16 v19, v39, v19
	;; [unrolled: 1-line block ×7, first 2 shown]
	ds_write_b32 v84, v20 offset:544
	ds_write2_b32 v83, v19, v21 offset1:68
	ds_write_b32 v83, v22 offset:544
	ds_write2_b32 v82, v17, v18 offset1:68
	ds_write_b32 v82, v23 offset:544
	s_and_saveexec_b32 s1, s0
	s_cbranch_execz .LBB0_21
; %bb.20:
	v_mul_f16_sdwa v17, v16, v88 dst_sel:DWORD dst_unused:UNUSED_PAD src0_sel:WORD_1 src1_sel:DWORD
	v_mul_f16_sdwa v18, v15, v92 dst_sel:DWORD dst_unused:UNUSED_PAD src0_sel:WORD_1 src1_sel:DWORD
	;; [unrolled: 1-line block ×4, first 2 shown]
	v_fma_f16 v17, v16, v89, -v17
	v_fma_f16 v18, v15, v93, -v18
	v_fmac_f16_e32 v19, v15, v92
	v_fmac_f16_e32 v20, v16, v88
	v_mov_b32_e32 v15, 2
	v_add_f16_e32 v16, v18, v17
	v_add_f16_e32 v21, v18, v42
	;; [unrolled: 1-line block ×4, first 2 shown]
	v_sub_f16_e32 v19, v19, v20
	v_fmac_f16_e32 v42, -0.5, v16
	v_sub_f16_e32 v16, v18, v17
	v_fmac_f16_e32 v41, -0.5, v22
	v_add_f16_e32 v17, v17, v21
	v_add_f16_e32 v18, v23, v20
	v_fmamk_f16 v20, v19, 0xbaee, v42
	v_fmac_f16_e32 v42, 0x3aee, v19
	v_fmamk_f16 v19, v16, 0x3aee, v41
	v_fmac_f16_e32 v41, 0xbaee, v16
	v_lshlrev_b32_sdwa v15, v15, v58 dst_sel:DWORD dst_unused:UNUSED_PAD src0_sel:DWORD src1_sel:WORD_0
	v_pack_b32_f16 v16, v18, v17
	v_pack_b32_f16 v19, v19, v20
	;; [unrolled: 1-line block ×3, first 2 shown]
	v_add_nc_u32_e32 v18, 0x1400, v15
	ds_write2_b32 v18, v16, v17 offset0:148 offset1:216
	ds_write_b32 v15, v19 offset:6256
.LBB0_21:
	s_or_b32 exec_lo, exec_lo, s1
	v_add_nc_u32_e32 v31, 0x200, v49
	v_add_nc_u32_e32 v32, 0x400, v49
	s_waitcnt lgkmcnt(0)
	s_barrier
	buffer_gl0_inv
	ds_read2_b32 v[15:16], v49 offset1:102
	ds_read2_b32 v[17:18], v31 offset0:76 offset1:178
	ds_read2_b32 v[19:20], v32 offset0:152 offset1:254
	v_add_nc_u32_e32 v33, 0x800, v49
	v_add_nc_u32_e32 v34, 0xc00, v49
	;; [unrolled: 1-line block ×5, first 2 shown]
	ds_read2_b32 v[21:22], v33 offset0:100 offset1:202
	ds_read2_b32 v[23:24], v34 offset0:48 offset1:150
	;; [unrolled: 1-line block ×5, first 2 shown]
	s_waitcnt lgkmcnt(7)
	v_lshrrev_b32_e32 v38, 16, v15
	s_waitcnt lgkmcnt(6)
	v_lshrrev_b32_e32 v39, 16, v17
	;; [unrolled: 2-line block ×3, first 2 shown]
	v_mul_f16_sdwa v56, v4, v17 dst_sel:DWORD dst_unused:UNUSED_PAD src0_sel:WORD_1 src1_sel:DWORD
	s_waitcnt lgkmcnt(4)
	v_lshrrev_b32_e32 v41, 16, v21
	s_waitcnt lgkmcnt(3)
	v_lshrrev_b32_e32 v42, 16, v23
	v_mul_f16_sdwa v55, v4, v39 dst_sel:DWORD dst_unused:UNUSED_PAD src0_sel:WORD_1 src1_sel:DWORD
	v_mul_f16_sdwa v59, v5, v40 dst_sel:DWORD dst_unused:UNUSED_PAD src0_sel:WORD_1 src1_sel:DWORD
	s_waitcnt lgkmcnt(2)
	v_lshrrev_b32_e32 v43, 16, v25
	s_waitcnt lgkmcnt(1)
	v_lshrrev_b32_e32 v45, 16, v27
	;; [unrolled: 2-line block ×3, first 2 shown]
	v_fmac_f16_e32 v55, v4, v17
	v_fma_f16 v4, v4, v39, -v56
	v_mul_f16_sdwa v17, v5, v19 dst_sel:DWORD dst_unused:UNUSED_PAD src0_sel:WORD_1 src1_sel:DWORD
	v_mul_f16_sdwa v39, v6, v41 dst_sel:DWORD dst_unused:UNUSED_PAD src0_sel:WORD_1 src1_sel:DWORD
	v_fmac_f16_e32 v59, v5, v19
	v_mul_f16_sdwa v19, v6, v21 dst_sel:DWORD dst_unused:UNUSED_PAD src0_sel:WORD_1 src1_sel:DWORD
	v_mul_f16_sdwa v56, v7, v42 dst_sel:DWORD dst_unused:UNUSED_PAD src0_sel:WORD_1 src1_sel:DWORD
	v_fma_f16 v5, v5, v40, -v17
	v_fmac_f16_e32 v39, v6, v21
	v_mul_f16_sdwa v17, v7, v23 dst_sel:DWORD dst_unused:UNUSED_PAD src0_sel:WORD_1 src1_sel:DWORD
	v_fma_f16 v6, v6, v41, -v19
	v_mul_f16_sdwa v19, v11, v43 dst_sel:DWORD dst_unused:UNUSED_PAD src0_sel:WORD_1 src1_sel:DWORD
	v_mul_f16_sdwa v21, v11, v25 dst_sel:DWORD dst_unused:UNUSED_PAD src0_sel:WORD_1 src1_sel:DWORD
	v_lshrrev_b32_e32 v50, 16, v18
	v_lshrrev_b32_e32 v51, 16, v20
	v_fmac_f16_e32 v56, v7, v23
	v_fma_f16 v7, v7, v42, -v17
	v_mul_f16_sdwa v17, v12, v45 dst_sel:DWORD dst_unused:UNUSED_PAD src0_sel:WORD_1 src1_sel:DWORD
	v_mul_f16_sdwa v23, v12, v27 dst_sel:DWORD dst_unused:UNUSED_PAD src0_sel:WORD_1 src1_sel:DWORD
	v_fmac_f16_e32 v19, v11, v25
	v_fma_f16 v11, v11, v43, -v21
	v_mul_f16_sdwa v21, v13, v46 dst_sel:DWORD dst_unused:UNUSED_PAD src0_sel:WORD_1 src1_sel:DWORD
	v_lshrrev_b32_e32 v52, 16, v22
	v_fmac_f16_e32 v17, v12, v27
	v_fma_f16 v12, v12, v45, -v23
	v_mul_f16_sdwa v23, v13, v29 dst_sel:DWORD dst_unused:UNUSED_PAD src0_sel:WORD_1 src1_sel:DWORD
	v_mul_f16_sdwa v25, v0, v50 dst_sel:DWORD dst_unused:UNUSED_PAD src0_sel:WORD_1 src1_sel:DWORD
	v_fmac_f16_e32 v21, v13, v29
	v_mul_f16_sdwa v29, v1, v51 dst_sel:DWORD dst_unused:UNUSED_PAD src0_sel:WORD_1 src1_sel:DWORD
	v_lshrrev_b32_e32 v53, 16, v24
	v_lshrrev_b32_e32 v54, 16, v26
	v_mul_f16_sdwa v27, v0, v18 dst_sel:DWORD dst_unused:UNUSED_PAD src0_sel:WORD_1 src1_sel:DWORD
	v_fma_f16 v13, v13, v46, -v23
	v_fmac_f16_e32 v25, v0, v18
	v_mul_f16_sdwa v18, v1, v20 dst_sel:DWORD dst_unused:UNUSED_PAD src0_sel:WORD_1 src1_sel:DWORD
	v_fmac_f16_e32 v29, v1, v20
	v_mul_f16_sdwa v20, v2, v52 dst_sel:DWORD dst_unused:UNUSED_PAD src0_sel:WORD_1 src1_sel:DWORD
	v_mul_f16_sdwa v23, v2, v22 dst_sel:DWORD dst_unused:UNUSED_PAD src0_sel:WORD_1 src1_sel:DWORD
	v_lshrrev_b32_e32 v57, 16, v28
	v_fma_f16 v1, v1, v51, -v18
	v_mul_f16_sdwa v18, v3, v53 dst_sel:DWORD dst_unused:UNUSED_PAD src0_sel:WORD_1 src1_sel:DWORD
	v_fmac_f16_e32 v20, v2, v22
	v_fma_f16 v2, v2, v52, -v23
	v_mul_f16_sdwa v22, v8, v54 dst_sel:DWORD dst_unused:UNUSED_PAD src0_sel:WORD_1 src1_sel:DWORD
	v_mul_f16_sdwa v23, v8, v26 dst_sel:DWORD dst_unused:UNUSED_PAD src0_sel:WORD_1 src1_sel:DWORD
	v_fma_f16 v0, v0, v50, -v27
	v_mul_f16_sdwa v27, v3, v24 dst_sel:DWORD dst_unused:UNUSED_PAD src0_sel:WORD_1 src1_sel:DWORD
	v_fmac_f16_e32 v18, v3, v24
	v_mul_f16_sdwa v24, v9, v57 dst_sel:DWORD dst_unused:UNUSED_PAD src0_sel:WORD_1 src1_sel:DWORD
	v_fmac_f16_e32 v22, v8, v26
	v_mul_f16_sdwa v26, v9, v28 dst_sel:DWORD dst_unused:UNUSED_PAD src0_sel:WORD_1 src1_sel:DWORD
	v_fma_f16 v8, v8, v54, -v23
	v_sub_f16_e32 v23, v15, v56
	v_sub_f16_e32 v7, v38, v7
	;; [unrolled: 1-line block ×8, first 2 shown]
	v_lshrrev_b32_e32 v58, 16, v30
	v_fmac_f16_e32 v24, v9, v28
	v_fma_f16 v9, v9, v57, -v26
	v_fma_f16 v15, v15, 2.0, -v23
	v_fma_f16 v26, v38, 2.0, -v7
	;; [unrolled: 1-line block ×8, first 2 shown]
	v_fma_f16 v3, v3, v53, -v27
	v_mul_f16_sdwa v27, v10, v58 dst_sel:DWORD dst_unused:UNUSED_PAD src0_sel:WORD_1 src1_sel:DWORD
	v_sub_f16_e32 v28, v15, v28
	v_sub_f16_e32 v5, v26, v5
	v_add_f16_e32 v12, v23, v12
	v_add_f16_e32 v13, v19, v13
	v_sub_f16_e32 v39, v38, v39
	v_sub_f16_e32 v6, v4, v6
	v_fmac_f16_e32 v27, v10, v30
	v_fma_f16 v15, v15, 2.0, -v28
	v_fma_f16 v26, v26, 2.0, -v5
	v_sub_f16_e32 v17, v7, v17
	v_fma_f16 v23, v23, 2.0, -v12
	v_sub_f16_e32 v21, v11, v21
	v_fma_f16 v19, v19, 2.0, -v13
	v_fma_f16 v38, v38, 2.0, -v39
	;; [unrolled: 1-line block ×3, first 2 shown]
	v_mul_f16_sdwa v30, v10, v30 dst_sel:DWORD dst_unused:UNUSED_PAD src0_sel:WORD_1 src1_sel:DWORD
	v_lshrrev_b32_e32 v47, 16, v16
	v_fma_f16 v7, v7, 2.0, -v17
	v_fma_f16 v11, v11, 2.0, -v21
	v_fmamk_f16 v40, v19, 0xb9a8, v23
	v_sub_f16_e32 v38, v15, v38
	v_sub_f16_e32 v4, v26, v4
	v_fma_f16 v10, v10, v58, -v30
	v_fmamk_f16 v41, v11, 0xb9a8, v7
	v_fmac_f16_e32 v40, 0x39a8, v11
	v_fma_f16 v11, v15, 2.0, -v38
	v_fma_f16 v15, v26, 2.0, -v4
	v_fmamk_f16 v26, v13, 0x39a8, v12
	v_fmamk_f16 v30, v21, 0x39a8, v17
	v_sub_f16_e32 v18, v16, v18
	v_sub_f16_e32 v3, v47, v3
	;; [unrolled: 1-line block ×5, first 2 shown]
	v_fmac_f16_e32 v26, 0x39a8, v21
	v_fmac_f16_e32 v30, 0xb9a8, v13
	v_fma_f16 v13, v16, 2.0, -v18
	v_sub_f16_e32 v16, v29, v24
	v_sub_f16_e32 v21, v25, v22
	v_fma_f16 v22, v47, 2.0, -v3
	v_fma_f16 v1, v1, 2.0, -v9
	v_sub_f16_e32 v27, v20, v27
	v_fma_f16 v0, v0, 2.0, -v8
	v_fma_f16 v2, v2, 2.0, -v10
	;; [unrolled: 1-line block ×4, first 2 shown]
	v_sub_f16_e32 v1, v22, v1
	v_fma_f16 v20, v20, 2.0, -v27
	v_add_f16_e32 v9, v18, v9
	v_sub_f16_e32 v16, v3, v16
	v_add_f16_e32 v10, v21, v10
	v_sub_f16_e32 v2, v0, v2
	v_sub_f16_e32 v27, v8, v27
	;; [unrolled: 1-line block ×3, first 2 shown]
	v_fma_f16 v22, v22, 2.0, -v1
	v_fma_f16 v18, v18, 2.0, -v9
	v_sub_f16_e32 v20, v25, v20
	v_fma_f16 v3, v3, 2.0, -v16
	v_fma_f16 v21, v21, 2.0, -v10
	;; [unrolled: 1-line block ×4, first 2 shown]
	v_fmac_f16_e32 v41, 0xb9a8, v19
	v_fma_f16 v19, v23, 2.0, -v40
	v_sub_f16_e32 v23, v5, v39
	v_fma_f16 v13, v13, 2.0, -v24
	v_fma_f16 v25, v25, 2.0, -v20
	v_fmamk_f16 v29, v21, 0xb9a8, v18
	v_sub_f16_e32 v0, v22, v0
	v_fmamk_f16 v39, v8, 0xb9a8, v3
	v_add_f16_e32 v6, v28, v6
	v_sub_f16_e32 v25, v13, v25
	v_fmac_f16_e32 v29, 0x39a8, v8
	v_fma_f16 v8, v22, 2.0, -v0
	v_fmac_f16_e32 v39, 0xb9a8, v21
	v_fmamk_f16 v21, v10, 0x39a8, v9
	v_fmamk_f16 v22, v27, 0x39a8, v16
	v_add_f16_e32 v2, v24, v2
	v_sub_f16_e32 v20, v1, v20
	v_fma_f16 v13, v13, 2.0, -v25
	v_fmac_f16_e32 v21, 0x39a8, v27
	v_fmac_f16_e32 v22, 0xb9a8, v10
	v_fma_f16 v7, v7, 2.0, -v41
	v_fma_f16 v18, v18, 2.0, -v29
	;; [unrolled: 1-line block ×11, first 2 shown]
	v_pack_b32_f16 v11, v11, v15
	v_pack_b32_f16 v8, v13, v8
	;; [unrolled: 1-line block ×7, first 2 shown]
	ds_write2_b32 v49, v11, v8 offset1:102
	ds_write2_b32 v31, v7, v3 offset0:76 offset1:178
	ds_write2_b32 v32, v5, v1 offset0:152 offset1:254
	v_pack_b32_f16 v1, v9, v16
	v_pack_b32_f16 v4, v38, v4
	;; [unrolled: 1-line block ×9, first 2 shown]
	ds_write2_b32 v33, v12, v1 offset0:100 offset1:202
	ds_write2_b32 v34, v4, v0 offset0:48 offset1:150
	;; [unrolled: 1-line block ×5, first 2 shown]
	s_waitcnt lgkmcnt(0)
	s_barrier
	buffer_gl0_inv
	s_and_b32 exec_lo, exec_lo, vcc_lo
	s_cbranch_execz .LBB0_23
; %bb.22:
	global_load_dword v0, v44, s[12:13]
	ds_read_b32 v1, v49
	s_mov_b32 s8, 0x14141414
	s_mov_b32 s9, 0x3f441414
	v_mad_u64_u32 v[6:7], null, s4, v48, 0
	s_mul_hi_u32 s3, s4, 0x180
	s_mul_i32 s10, s4, 0x300
	s_waitcnt lgkmcnt(0)
	v_lshrrev_b32_e32 v2, 16, v1
	s_waitcnt vmcnt(0)
	v_mul_f16_sdwa v3, v2, v0 dst_sel:DWORD dst_unused:UNUSED_PAD src0_sel:DWORD src1_sel:WORD_1
	v_mul_f16_sdwa v4, v1, v0 dst_sel:DWORD dst_unused:UNUSED_PAD src0_sel:DWORD src1_sel:WORD_1
	v_fmac_f16_e32 v3, v1, v0
	v_fma_f16 v0, v0, v2, -v4
	v_mad_u64_u32 v[4:5], null, s6, v187, 0
	s_mul_i32 s6, s4, 0x180
	v_cvt_f32_f16_e32 v1, v3
	v_cvt_f32_f16_e32 v2, v0
	v_cvt_f64_f32_e32 v[0:1], v1
	v_cvt_f64_f32_e32 v[2:3], v2
	v_mul_f64 v[0:1], v[0:1], s[8:9]
	v_mul_f64 v[2:3], v[2:3], s[8:9]
	v_and_or_b32 v0, 0x1ff, v1, v0
	v_and_or_b32 v2, 0x1ff, v3, v2
	v_lshrrev_b32_e32 v8, 8, v1
	v_bfe_u32 v10, v1, 20, 11
	v_bfe_u32 v11, v3, 20, 11
	v_cmp_ne_u32_e32 vcc_lo, 0, v0
	v_lshrrev_b32_e32 v9, 8, v3
	v_mov_b32_e32 v0, v7
	v_sub_nc_u32_e32 v13, 0x3f1, v10
	v_sub_nc_u32_e32 v15, 0x3f1, v11
	v_cndmask_b32_e64 v12, 0, 1, vcc_lo
	v_cmp_ne_u32_e32 vcc_lo, 0, v2
	v_add_nc_u32_e32 v10, 0xfffffc10, v10
	v_med3_i32 v13, v13, 0, 13
	v_med3_i32 v14, v15, 0, 13
	v_and_or_b32 v12, 0xffe, v8, v12
	v_cndmask_b32_e64 v2, 0, 1, vcc_lo
	v_mad_u64_u32 v[7:8], null, s7, v187, v[5:6]
	v_add_nc_u32_e32 v11, 0xfffffc10, v11
	v_or_b32_e32 v15, 0x1000, v12
	v_and_or_b32 v2, 0xffe, v9, v2
	v_mad_u64_u32 v[8:9], null, s5, v48, v[0:1]
	s_mul_hi_u32 s7, s4, 0x300
	v_lshrrev_b32_e32 v0, v13, v15
	v_or_b32_e32 v16, 0x1000, v2
	v_mov_b32_e32 v5, v7
	v_mov_b32_e32 v7, v8
	v_lshrrev_b32_e32 v9, v14, v16
	v_lshlrev_b32_e32 v13, v13, v0
	v_lshlrev_b64 v[4:5], 2, v[4:5]
	v_lshlrev_b32_e32 v8, v14, v9
	v_cmp_ne_u32_e32 vcc_lo, v13, v15
	v_lshl_or_b32 v14, v10, 12, v12
	v_cndmask_b32_e64 v13, 0, 1, vcc_lo
	v_cmp_ne_u32_e32 vcc_lo, v8, v16
	v_or_b32_e32 v0, v0, v13
	v_cndmask_b32_e64 v8, 0, 1, vcc_lo
	v_cmp_gt_i32_e32 vcc_lo, 1, v10
	v_lshl_or_b32 v13, v11, 12, v2
	v_or_b32_e32 v8, v9, v8
	v_cndmask_b32_e32 v0, v14, v0, vcc_lo
	v_cmp_gt_i32_e32 vcc_lo, 1, v11
	v_lshrrev_b32_e32 v9, 16, v1
	v_cndmask_b32_e32 v1, v13, v8, vcc_lo
	v_cmp_ne_u32_e32 vcc_lo, 0, v12
	v_and_b32_e32 v12, 7, v0
	v_lshrrev_b32_e32 v0, 2, v0
	v_and_b32_e32 v13, 7, v1
	v_cndmask_b32_e64 v8, 0, 1, vcc_lo
	v_cmp_ne_u32_e32 vcc_lo, 0, v2
	v_cmp_eq_u32_e64 s0, 3, v12
	v_lshrrev_b32_e32 v1, 2, v1
	v_cmp_lt_i32_e64 s1, 5, v13
	v_cmp_eq_u32_e64 s2, 3, v13
	v_cndmask_b32_e64 v2, 0, 1, vcc_lo
	v_cmp_lt_i32_e32 vcc_lo, 5, v12
	v_lshl_or_b32 v8, v8, 9, 0x7c00
	v_lshl_or_b32 v2, v2, 9, 0x7c00
	s_or_b32 vcc_lo, s0, vcc_lo
	v_add_co_ci_u32_e32 v0, vcc_lo, 0, v0, vcc_lo
	s_or_b32 vcc_lo, s2, s1
	v_add_co_ci_u32_e32 v1, vcc_lo, 0, v1, vcc_lo
	v_cmp_gt_i32_e32 vcc_lo, 31, v10
	v_cndmask_b32_e32 v0, 0x7c00, v0, vcc_lo
	v_cmp_gt_i32_e32 vcc_lo, 31, v11
	v_cndmask_b32_e32 v12, 0x7c00, v1, vcc_lo
	v_cmp_eq_u32_e32 vcc_lo, 0x40f, v10
	v_cndmask_b32_e32 v8, v0, v8, vcc_lo
	v_cmp_eq_u32_e32 vcc_lo, 0x40f, v11
	v_lshlrev_b64 v[0:1], 2, v[6:7]
	v_lshrrev_b32_e32 v6, 16, v3
	v_and_or_b32 v8, 0x8000, v9, v8
	v_cndmask_b32_e32 v7, v12, v2, vcc_lo
	v_add_co_u32 v2, vcc_lo, s14, v4
	v_add_co_ci_u32_e32 v3, vcc_lo, s15, v5, vcc_lo
	v_and_or_b32 v4, 0x8000, v6, v7
	v_and_b32_e32 v5, 0xffff, v8
	v_add_co_u32 v0, vcc_lo, v2, v0
	v_add_co_ci_u32_e32 v1, vcc_lo, v3, v1, vcc_lo
	v_lshl_or_b32 v4, v4, 16, v5
	global_store_dword v[0:1], v4, off
	global_load_dword v6, v44, s[12:13] offset:384
	ds_read2_b32 v[4:5], v44 offset0:96 offset1:192
	s_waitcnt lgkmcnt(0)
	v_lshrrev_b32_e32 v7, 16, v4
	s_waitcnt vmcnt(0)
	v_mul_f16_sdwa v8, v7, v6 dst_sel:DWORD dst_unused:UNUSED_PAD src0_sel:DWORD src1_sel:WORD_1
	v_mul_f16_sdwa v9, v4, v6 dst_sel:DWORD dst_unused:UNUSED_PAD src0_sel:DWORD src1_sel:WORD_1
	v_fmac_f16_e32 v8, v4, v6
	v_fma_f16 v4, v6, v7, -v9
	v_cvt_f32_f16_e32 v6, v8
	v_cvt_f32_f16_e32 v4, v4
	v_cvt_f64_f32_e32 v[6:7], v6
	v_cvt_f64_f32_e32 v[8:9], v4
	v_mul_f64 v[6:7], v[6:7], s[8:9]
	v_mul_f64 v[8:9], v[8:9], s[8:9]
	v_and_or_b32 v4, 0x1ff, v7, v6
	v_and_or_b32 v8, 0x1ff, v9, v8
	v_lshrrev_b32_e32 v6, 8, v7
	v_bfe_u32 v10, v7, 20, 11
	v_lshrrev_b32_e32 v11, 8, v9
	v_cmp_ne_u32_e32 vcc_lo, 0, v4
	v_bfe_u32 v12, v9, 20, 11
	v_lshrrev_b32_e32 v7, 16, v7
	v_sub_nc_u32_e32 v13, 0x3f1, v10
	v_add_nc_u32_e32 v10, 0xfffffc10, v10
	v_cndmask_b32_e64 v4, 0, 1, vcc_lo
	v_cmp_ne_u32_e32 vcc_lo, 0, v8
	v_lshrrev_b32_e32 v9, 16, v9
	v_and_or_b32 v4, 0xffe, v6, v4
	v_cndmask_b32_e64 v8, 0, 1, vcc_lo
	v_sub_nc_u32_e32 v6, 0x3f1, v12
	v_add_nc_u32_e32 v12, 0xfffffc10, v12
	v_and_or_b32 v8, 0xffe, v11, v8
	v_med3_i32 v11, v13, 0, 13
	v_or_b32_e32 v13, 0x1000, v4
	v_med3_i32 v6, v6, 0, 13
	v_or_b32_e32 v14, 0x1000, v8
	v_lshrrev_b32_e32 v15, v11, v13
	v_lshrrev_b32_e32 v16, v6, v14
	v_lshlrev_b32_e32 v11, v11, v15
	v_lshlrev_b32_e32 v6, v6, v16
	v_cmp_ne_u32_e32 vcc_lo, v11, v13
	v_lshl_or_b32 v13, v10, 12, v4
	v_cndmask_b32_e64 v11, 0, 1, vcc_lo
	v_cmp_ne_u32_e32 vcc_lo, v6, v14
	v_lshl_or_b32 v14, v12, 12, v8
	v_or_b32_e32 v11, v15, v11
	v_cndmask_b32_e64 v6, 0, 1, vcc_lo
	v_cmp_gt_i32_e32 vcc_lo, 1, v10
	v_or_b32_e32 v6, v16, v6
	v_cndmask_b32_e32 v11, v13, v11, vcc_lo
	v_cmp_gt_i32_e32 vcc_lo, 1, v12
	v_and_b32_e32 v13, 7, v11
	v_cndmask_b32_e32 v6, v14, v6, vcc_lo
	v_cmp_ne_u32_e32 vcc_lo, 0, v4
	v_lshrrev_b32_e32 v11, 2, v11
	v_cmp_eq_u32_e64 s0, 3, v13
	v_and_b32_e32 v14, 7, v6
	v_cndmask_b32_e64 v4, 0, 1, vcc_lo
	v_cmp_ne_u32_e32 vcc_lo, 0, v8
	v_lshrrev_b32_e32 v6, 2, v6
	v_cmp_lt_i32_e64 s1, 5, v14
	v_cmp_eq_u32_e64 s2, 3, v14
	v_cndmask_b32_e64 v8, 0, 1, vcc_lo
	v_cmp_lt_i32_e32 vcc_lo, 5, v13
	v_lshl_or_b32 v4, v4, 9, 0x7c00
	v_lshl_or_b32 v8, v8, 9, 0x7c00
	s_or_b32 vcc_lo, s0, vcc_lo
	s_mul_i32 s0, s5, 0x180
	v_add_co_ci_u32_e32 v11, vcc_lo, 0, v11, vcc_lo
	s_or_b32 vcc_lo, s2, s1
	s_add_i32 s3, s3, s0
	v_add_co_ci_u32_e32 v6, vcc_lo, 0, v6, vcc_lo
	v_cmp_gt_i32_e32 vcc_lo, 31, v10
	v_cndmask_b32_e32 v11, 0x7c00, v11, vcc_lo
	v_cmp_gt_i32_e32 vcc_lo, 31, v12
	v_cndmask_b32_e32 v6, 0x7c00, v6, vcc_lo
	v_cmp_eq_u32_e32 vcc_lo, 0x40f, v10
	v_cndmask_b32_e32 v4, v11, v4, vcc_lo
	v_cmp_eq_u32_e32 vcc_lo, 0x40f, v12
	v_and_or_b32 v4, 0x8000, v7, v4
	v_cndmask_b32_e32 v6, v6, v8, vcc_lo
	v_add_co_u32 v0, vcc_lo, v0, s6
	v_add_co_ci_u32_e32 v1, vcc_lo, s3, v1, vcc_lo
	v_and_or_b32 v6, 0x8000, v9, v6
	v_and_b32_e32 v4, 0xffff, v4
	v_lshl_or_b32 v4, v6, 16, v4
	v_lshrrev_b32_e32 v6, 16, v5
	global_store_dword v[0:1], v4, off
	global_load_dword v4, v44, s[12:13] offset:768
	s_waitcnt vmcnt(0)
	v_mul_f16_sdwa v7, v6, v4 dst_sel:DWORD dst_unused:UNUSED_PAD src0_sel:DWORD src1_sel:WORD_1
	v_mul_f16_sdwa v8, v5, v4 dst_sel:DWORD dst_unused:UNUSED_PAD src0_sel:DWORD src1_sel:WORD_1
	v_fmac_f16_e32 v7, v5, v4
	v_fma_f16 v4, v4, v6, -v8
	v_cvt_f32_f16_e32 v5, v7
	v_cvt_f32_f16_e32 v6, v4
	v_cvt_f64_f32_e32 v[4:5], v5
	v_cvt_f64_f32_e32 v[6:7], v6
	v_mul_f64 v[4:5], v[4:5], s[8:9]
	v_mul_f64 v[6:7], v[6:7], s[8:9]
	v_and_or_b32 v4, 0x1ff, v5, v4
	v_and_or_b32 v6, 0x1ff, v7, v6
	v_lshrrev_b32_e32 v8, 8, v5
	v_bfe_u32 v9, v5, 20, 11
	v_lshrrev_b32_e32 v10, 8, v7
	v_cmp_ne_u32_e32 vcc_lo, 0, v4
	v_bfe_u32 v11, v7, 20, 11
	v_lshrrev_b32_e32 v5, 16, v5
	v_sub_nc_u32_e32 v12, 0x3f1, v9
	v_add_nc_u32_e32 v9, 0xfffffc10, v9
	v_cndmask_b32_e64 v4, 0, 1, vcc_lo
	v_cmp_ne_u32_e32 vcc_lo, 0, v6
	v_lshrrev_b32_e32 v7, 16, v7
	v_and_or_b32 v4, 0xffe, v8, v4
	v_cndmask_b32_e64 v6, 0, 1, vcc_lo
	v_sub_nc_u32_e32 v8, 0x3f1, v11
	v_add_nc_u32_e32 v11, 0xfffffc10, v11
	v_and_or_b32 v6, 0xffe, v10, v6
	v_med3_i32 v10, v12, 0, 13
	v_or_b32_e32 v12, 0x1000, v4
	v_med3_i32 v8, v8, 0, 13
	v_or_b32_e32 v13, 0x1000, v6
	v_lshrrev_b32_e32 v14, v10, v12
	v_lshrrev_b32_e32 v15, v8, v13
	v_lshlrev_b32_e32 v10, v10, v14
	v_lshlrev_b32_e32 v8, v8, v15
	v_cmp_ne_u32_e32 vcc_lo, v10, v12
	v_lshl_or_b32 v12, v9, 12, v4
	v_cndmask_b32_e64 v10, 0, 1, vcc_lo
	v_cmp_ne_u32_e32 vcc_lo, v8, v13
	v_lshl_or_b32 v13, v11, 12, v6
	v_or_b32_e32 v10, v14, v10
	v_cndmask_b32_e64 v8, 0, 1, vcc_lo
	v_cmp_gt_i32_e32 vcc_lo, 1, v9
	v_or_b32_e32 v8, v15, v8
	v_cndmask_b32_e32 v10, v12, v10, vcc_lo
	v_cmp_gt_i32_e32 vcc_lo, 1, v11
	v_and_b32_e32 v12, 7, v10
	v_cndmask_b32_e32 v8, v13, v8, vcc_lo
	v_cmp_ne_u32_e32 vcc_lo, 0, v4
	v_lshrrev_b32_e32 v10, 2, v10
	v_cmp_eq_u32_e64 s0, 3, v12
	v_and_b32_e32 v13, 7, v8
	v_cndmask_b32_e64 v4, 0, 1, vcc_lo
	v_cmp_ne_u32_e32 vcc_lo, 0, v6
	v_lshrrev_b32_e32 v8, 2, v8
	v_cmp_lt_i32_e64 s1, 5, v13
	v_cmp_eq_u32_e64 s2, 3, v13
	v_cndmask_b32_e64 v6, 0, 1, vcc_lo
	v_cmp_lt_i32_e32 vcc_lo, 5, v12
	v_lshl_or_b32 v4, v4, 9, 0x7c00
	v_lshl_or_b32 v6, v6, 9, 0x7c00
	s_or_b32 vcc_lo, s0, vcc_lo
	v_add_co_ci_u32_e32 v10, vcc_lo, 0, v10, vcc_lo
	s_or_b32 vcc_lo, s2, s1
	v_add_co_ci_u32_e32 v8, vcc_lo, 0, v8, vcc_lo
	v_cmp_gt_i32_e32 vcc_lo, 31, v9
	v_cndmask_b32_e32 v10, 0x7c00, v10, vcc_lo
	v_cmp_gt_i32_e32 vcc_lo, 31, v11
	v_cndmask_b32_e32 v8, 0x7c00, v8, vcc_lo
	v_cmp_eq_u32_e32 vcc_lo, 0x40f, v9
	v_cndmask_b32_e32 v4, v10, v4, vcc_lo
	v_cmp_eq_u32_e32 vcc_lo, 0x40f, v11
	v_and_or_b32 v4, 0x8000, v5, v4
	v_cndmask_b32_e32 v6, v8, v6, vcc_lo
	v_add_co_u32 v0, vcc_lo, v0, s6
	v_add_co_ci_u32_e32 v1, vcc_lo, s3, v1, vcc_lo
	v_and_or_b32 v5, 0x8000, v7, v6
	v_and_b32_e32 v4, 0xffff, v4
	v_lshl_or_b32 v4, v5, 16, v4
	global_store_dword v[0:1], v4, off
	global_load_dword v6, v44, s[12:13] offset:1152
	v_add_nc_u32_e32 v4, 0x400, v44
	ds_read2_b32 v[4:5], v4 offset0:32 offset1:128
	s_waitcnt lgkmcnt(0)
	v_lshrrev_b32_e32 v7, 16, v4
	s_waitcnt vmcnt(0)
	v_mul_f16_sdwa v8, v7, v6 dst_sel:DWORD dst_unused:UNUSED_PAD src0_sel:DWORD src1_sel:WORD_1
	v_mul_f16_sdwa v9, v4, v6 dst_sel:DWORD dst_unused:UNUSED_PAD src0_sel:DWORD src1_sel:WORD_1
	v_fmac_f16_e32 v8, v4, v6
	v_fma_f16 v4, v6, v7, -v9
	v_cvt_f32_f16_e32 v6, v8
	v_cvt_f32_f16_e32 v4, v4
	v_cvt_f64_f32_e32 v[6:7], v6
	v_cvt_f64_f32_e32 v[8:9], v4
	v_mul_f64 v[6:7], v[6:7], s[8:9]
	v_mul_f64 v[8:9], v[8:9], s[8:9]
	v_and_or_b32 v4, 0x1ff, v7, v6
	v_and_or_b32 v8, 0x1ff, v9, v8
	v_lshrrev_b32_e32 v6, 8, v7
	v_bfe_u32 v10, v7, 20, 11
	v_lshrrev_b32_e32 v11, 8, v9
	v_cmp_ne_u32_e32 vcc_lo, 0, v4
	v_bfe_u32 v12, v9, 20, 11
	v_lshrrev_b32_e32 v7, 16, v7
	v_sub_nc_u32_e32 v13, 0x3f1, v10
	v_add_nc_u32_e32 v10, 0xfffffc10, v10
	v_cndmask_b32_e64 v4, 0, 1, vcc_lo
	v_cmp_ne_u32_e32 vcc_lo, 0, v8
	v_lshrrev_b32_e32 v9, 16, v9
	v_and_or_b32 v4, 0xffe, v6, v4
	v_cndmask_b32_e64 v8, 0, 1, vcc_lo
	v_sub_nc_u32_e32 v6, 0x3f1, v12
	v_add_nc_u32_e32 v12, 0xfffffc10, v12
	v_and_or_b32 v8, 0xffe, v11, v8
	v_med3_i32 v11, v13, 0, 13
	v_or_b32_e32 v13, 0x1000, v4
	v_med3_i32 v6, v6, 0, 13
	v_or_b32_e32 v14, 0x1000, v8
	v_lshrrev_b32_e32 v15, v11, v13
	v_lshrrev_b32_e32 v16, v6, v14
	v_lshlrev_b32_e32 v11, v11, v15
	v_lshlrev_b32_e32 v6, v6, v16
	v_cmp_ne_u32_e32 vcc_lo, v11, v13
	v_lshl_or_b32 v13, v10, 12, v4
	v_cndmask_b32_e64 v11, 0, 1, vcc_lo
	v_cmp_ne_u32_e32 vcc_lo, v6, v14
	v_lshl_or_b32 v14, v12, 12, v8
	v_or_b32_e32 v11, v15, v11
	v_cndmask_b32_e64 v6, 0, 1, vcc_lo
	v_cmp_gt_i32_e32 vcc_lo, 1, v10
	v_or_b32_e32 v6, v16, v6
	v_cndmask_b32_e32 v11, v13, v11, vcc_lo
	v_cmp_gt_i32_e32 vcc_lo, 1, v12
	v_and_b32_e32 v13, 7, v11
	v_cndmask_b32_e32 v6, v14, v6, vcc_lo
	v_cmp_ne_u32_e32 vcc_lo, 0, v4
	v_lshrrev_b32_e32 v11, 2, v11
	v_cmp_eq_u32_e64 s0, 3, v13
	v_and_b32_e32 v14, 7, v6
	v_cndmask_b32_e64 v4, 0, 1, vcc_lo
	v_cmp_ne_u32_e32 vcc_lo, 0, v8
	v_lshrrev_b32_e32 v6, 2, v6
	v_cmp_lt_i32_e64 s1, 5, v14
	v_cmp_eq_u32_e64 s2, 3, v14
	v_cndmask_b32_e64 v8, 0, 1, vcc_lo
	v_cmp_lt_i32_e32 vcc_lo, 5, v13
	v_lshl_or_b32 v4, v4, 9, 0x7c00
	v_lshl_or_b32 v8, v8, 9, 0x7c00
	s_or_b32 vcc_lo, s0, vcc_lo
	v_add_co_ci_u32_e32 v11, vcc_lo, 0, v11, vcc_lo
	s_or_b32 vcc_lo, s2, s1
	v_add_co_ci_u32_e32 v6, vcc_lo, 0, v6, vcc_lo
	v_cmp_gt_i32_e32 vcc_lo, 31, v10
	v_cndmask_b32_e32 v11, 0x7c00, v11, vcc_lo
	v_cmp_gt_i32_e32 vcc_lo, 31, v12
	v_cndmask_b32_e32 v6, 0x7c00, v6, vcc_lo
	v_cmp_eq_u32_e32 vcc_lo, 0x40f, v10
	v_cndmask_b32_e32 v4, v11, v4, vcc_lo
	v_cmp_eq_u32_e32 vcc_lo, 0x40f, v12
	v_and_or_b32 v4, 0x8000, v7, v4
	v_cndmask_b32_e32 v6, v6, v8, vcc_lo
	v_add_co_u32 v0, vcc_lo, v0, s6
	v_add_co_ci_u32_e32 v1, vcc_lo, s3, v1, vcc_lo
	v_and_or_b32 v6, 0x8000, v9, v6
	v_and_b32_e32 v4, 0xffff, v4
	v_lshl_or_b32 v4, v6, 16, v4
	v_lshrrev_b32_e32 v6, 16, v5
	global_store_dword v[0:1], v4, off
	global_load_dword v4, v44, s[12:13] offset:1536
	s_waitcnt vmcnt(0)
	v_mul_f16_sdwa v7, v6, v4 dst_sel:DWORD dst_unused:UNUSED_PAD src0_sel:DWORD src1_sel:WORD_1
	v_mul_f16_sdwa v8, v5, v4 dst_sel:DWORD dst_unused:UNUSED_PAD src0_sel:DWORD src1_sel:WORD_1
	v_fmac_f16_e32 v7, v5, v4
	v_fma_f16 v4, v4, v6, -v8
	v_cvt_f32_f16_e32 v5, v7
	v_cvt_f32_f16_e32 v6, v4
	v_cvt_f64_f32_e32 v[4:5], v5
	v_cvt_f64_f32_e32 v[6:7], v6
	v_mul_f64 v[4:5], v[4:5], s[8:9]
	v_mul_f64 v[6:7], v[6:7], s[8:9]
	v_and_or_b32 v4, 0x1ff, v5, v4
	v_and_or_b32 v6, 0x1ff, v7, v6
	v_lshrrev_b32_e32 v8, 8, v5
	v_bfe_u32 v10, v5, 20, 11
	v_bfe_u32 v11, v7, 20, 11
	v_cmp_ne_u32_e32 vcc_lo, 0, v4
	v_lshrrev_b32_e32 v9, 8, v7
	v_lshrrev_b32_e32 v7, 16, v7
	v_sub_nc_u32_e32 v12, 0x3f1, v10
	v_sub_nc_u32_e32 v13, 0x3f1, v11
	v_cndmask_b32_e64 v4, 0, 1, vcc_lo
	v_cmp_ne_u32_e32 vcc_lo, 0, v6
	v_add_nc_u32_e32 v11, 0xfffffc10, v11
	v_and_or_b32 v14, 0xffe, v8, v4
	v_cndmask_b32_e64 v6, 0, 1, vcc_lo
	v_med3_i32 v4, v12, 0, 13
	v_med3_i32 v12, v13, 0, 13
	v_or_b32_e32 v13, 0x1000, v14
	v_and_or_b32 v6, 0xffe, v9, v6
	v_mad_u64_u32 v[8:9], null, s4, v183, 0
	v_lshrrev_b32_e32 v16, v4, v13
	v_or_b32_e32 v15, 0x1000, v6
	v_lshlrev_b32_e32 v18, v4, v16
	v_lshrrev_b32_e32 v17, v12, v15
	v_mov_b32_e32 v4, v9
	v_cmp_ne_u32_e32 vcc_lo, v18, v13
	v_lshlrev_b32_e32 v9, v12, v17
	v_add_nc_u32_e32 v12, 0xfffffc10, v10
	v_cndmask_b32_e64 v13, 0, 1, vcc_lo
	v_cmp_ne_u32_e32 vcc_lo, v9, v15
	v_mad_u64_u32 v[9:10], null, s5, v183, v[4:5]
	v_lshl_or_b32 v4, v12, 12, v14
	v_or_b32_e32 v10, v16, v13
	v_cndmask_b32_e64 v15, 0, 1, vcc_lo
	v_cmp_gt_i32_e32 vcc_lo, 1, v12
	v_lshl_or_b32 v13, v11, 12, v6
	v_lshrrev_b32_e32 v5, 16, v5
	v_or_b32_e32 v15, v17, v15
	v_cndmask_b32_e32 v4, v4, v10, vcc_lo
	v_cmp_gt_i32_e32 vcc_lo, 1, v11
	v_cndmask_b32_e32 v10, v13, v15, vcc_lo
	v_cmp_ne_u32_e32 vcc_lo, 0, v14
	v_and_b32_e32 v14, 7, v4
	v_lshrrev_b32_e32 v4, 2, v4
	v_and_b32_e32 v15, 7, v10
	v_cndmask_b32_e64 v13, 0, 1, vcc_lo
	v_cmp_ne_u32_e32 vcc_lo, 0, v6
	v_cmp_eq_u32_e64 s0, 3, v14
	v_lshrrev_b32_e32 v10, 2, v10
	v_cmp_lt_i32_e64 s1, 5, v15
	v_cmp_eq_u32_e64 s2, 3, v15
	v_cndmask_b32_e64 v6, 0, 1, vcc_lo
	v_cmp_lt_i32_e32 vcc_lo, 5, v14
	v_lshl_or_b32 v13, v13, 9, 0x7c00
	v_lshl_or_b32 v6, v6, 9, 0x7c00
	s_or_b32 vcc_lo, s0, vcc_lo
	v_add_co_ci_u32_e32 v4, vcc_lo, 0, v4, vcc_lo
	s_or_b32 vcc_lo, s2, s1
	v_add_co_ci_u32_e32 v10, vcc_lo, 0, v10, vcc_lo
	v_cmp_gt_i32_e32 vcc_lo, 31, v12
	v_cndmask_b32_e32 v4, 0x7c00, v4, vcc_lo
	v_cmp_gt_i32_e32 vcc_lo, 31, v11
	v_cndmask_b32_e32 v10, 0x7c00, v10, vcc_lo
	v_cmp_eq_u32_e32 vcc_lo, 0x40f, v12
	v_cndmask_b32_e32 v4, v4, v13, vcc_lo
	v_cmp_eq_u32_e32 vcc_lo, 0x40f, v11
	v_cndmask_b32_e32 v6, v10, v6, vcc_lo
	v_and_or_b32 v10, 0x8000, v5, v4
	v_lshlrev_b64 v[4:5], 2, v[8:9]
	v_and_or_b32 v6, 0x8000, v7, v6
	v_and_b32_e32 v7, 0xffff, v10
	v_add_co_u32 v4, vcc_lo, v2, v4
	v_add_co_ci_u32_e32 v5, vcc_lo, v3, v5, vcc_lo
	v_lshl_or_b32 v6, v6, 16, v7
	global_store_dword v[4:5], v6, off
	global_load_dword v4, v44, s[12:13] offset:1920
	v_add_nc_u32_e32 v5, 0x600, v44
	ds_read2_b32 v[5:6], v5 offset0:96 offset1:192
	s_waitcnt lgkmcnt(0)
	v_lshrrev_b32_e32 v7, 16, v5
	s_waitcnt vmcnt(0)
	v_mul_f16_sdwa v8, v7, v4 dst_sel:DWORD dst_unused:UNUSED_PAD src0_sel:DWORD src1_sel:WORD_1
	v_mul_f16_sdwa v9, v5, v4 dst_sel:DWORD dst_unused:UNUSED_PAD src0_sel:DWORD src1_sel:WORD_1
	v_fmac_f16_e32 v8, v5, v4
	v_fma_f16 v4, v4, v7, -v9
	v_cvt_f32_f16_e32 v5, v8
	v_cvt_f32_f16_e32 v7, v4
	v_cvt_f64_f32_e32 v[4:5], v5
	v_cvt_f64_f32_e32 v[7:8], v7
	v_mul_f64 v[9:10], v[4:5], s[8:9]
	v_mul_f64 v[7:8], v[7:8], s[8:9]
	v_and_or_b32 v4, 0x1ff, v10, v9
	v_and_or_b32 v7, 0x1ff, v8, v7
	v_lshrrev_b32_e32 v5, 8, v10
	v_bfe_u32 v9, v10, 20, 11
	v_lshrrev_b32_e32 v11, 8, v8
	v_cmp_ne_u32_e32 vcc_lo, 0, v4
	v_bfe_u32 v12, v8, 20, 11
	v_lshrrev_b32_e32 v10, 16, v10
	v_sub_nc_u32_e32 v13, 0x3f1, v9
	v_add_nc_u32_e32 v9, 0xfffffc10, v9
	v_cndmask_b32_e64 v4, 0, 1, vcc_lo
	v_cmp_ne_u32_e32 vcc_lo, 0, v7
	v_lshrrev_b32_e32 v8, 16, v8
	v_and_or_b32 v14, 0xffe, v5, v4
	v_cndmask_b32_e64 v7, 0, 1, vcc_lo
	v_sub_nc_u32_e32 v4, 0x3f1, v12
	v_med3_i32 v5, v13, 0, 13
	v_add_nc_u32_e32 v12, 0xfffffc10, v12
	v_lshl_or_b32 v17, v9, 12, v14
	v_and_or_b32 v7, 0xffe, v11, v7
	v_or_b32_e32 v11, 0x1000, v14
	v_med3_i32 v4, v4, 0, 13
	v_or_b32_e32 v13, 0x1000, v7
	v_lshrrev_b32_e32 v15, v5, v11
	v_lshrrev_b32_e32 v16, v4, v13
	v_lshlrev_b32_e32 v5, v5, v15
	v_lshlrev_b32_e32 v4, v4, v16
	v_cmp_ne_u32_e32 vcc_lo, v5, v11
	v_cndmask_b32_e64 v11, 0, 1, vcc_lo
	v_cmp_ne_u32_e32 vcc_lo, v4, v13
	v_add_co_u32 v4, s0, s12, v44
	v_add_co_ci_u32_e64 v5, null, s13, 0, s0
	v_cndmask_b32_e64 v13, 0, 1, vcc_lo
	v_or_b32_e32 v11, v15, v11
	v_cmp_gt_i32_e32 vcc_lo, 1, v9
	v_lshl_or_b32 v15, v12, 12, v7
	v_or_b32_e32 v13, v16, v13
	v_cndmask_b32_e32 v11, v17, v11, vcc_lo
	v_cmp_gt_i32_e32 vcc_lo, 1, v12
	v_cndmask_b32_e32 v13, v15, v13, vcc_lo
	v_cmp_ne_u32_e32 vcc_lo, 0, v14
	v_and_b32_e32 v15, 7, v11
	v_lshrrev_b32_e32 v11, 2, v11
	v_and_b32_e32 v16, 7, v13
	v_cndmask_b32_e64 v14, 0, 1, vcc_lo
	v_cmp_ne_u32_e32 vcc_lo, 0, v7
	v_cmp_eq_u32_e64 s0, 3, v15
	v_lshrrev_b32_e32 v13, 2, v13
	v_cmp_lt_i32_e64 s1, 5, v16
	v_cmp_eq_u32_e64 s2, 3, v16
	v_cndmask_b32_e64 v7, 0, 1, vcc_lo
	v_cmp_lt_i32_e32 vcc_lo, 5, v15
	v_lshl_or_b32 v14, v14, 9, 0x7c00
	v_lshl_or_b32 v7, v7, 9, 0x7c00
	s_or_b32 vcc_lo, s0, vcc_lo
	s_mul_i32 s0, s5, 0x300
	v_add_co_ci_u32_e32 v11, vcc_lo, 0, v11, vcc_lo
	s_or_b32 vcc_lo, s2, s1
	s_add_i32 s7, s7, s0
	v_add_co_ci_u32_e32 v13, vcc_lo, 0, v13, vcc_lo
	v_cmp_gt_i32_e32 vcc_lo, 31, v9
	v_cndmask_b32_e32 v11, 0x7c00, v11, vcc_lo
	v_cmp_gt_i32_e32 vcc_lo, 31, v12
	v_cndmask_b32_e32 v13, 0x7c00, v13, vcc_lo
	v_cmp_eq_u32_e32 vcc_lo, 0x40f, v9
	v_cndmask_b32_e32 v9, v11, v14, vcc_lo
	v_cmp_eq_u32_e32 vcc_lo, 0x40f, v12
	v_and_or_b32 v9, 0x8000, v10, v9
	v_cndmask_b32_e32 v7, v13, v7, vcc_lo
	v_and_b32_e32 v9, 0xffff, v9
	v_and_or_b32 v10, 0x8000, v8, v7
	v_add_co_u32 v7, vcc_lo, v0, s10
	v_add_co_ci_u32_e32 v8, vcc_lo, s7, v1, vcc_lo
	v_add_co_u32 v0, vcc_lo, 0x800, v4
	v_lshl_or_b32 v9, v10, 16, v9
	v_add_co_ci_u32_e32 v1, vcc_lo, 0, v5, vcc_lo
	v_lshrrev_b32_e32 v10, 16, v6
	global_store_dword v[7:8], v9, off
	global_load_dword v9, v[0:1], off offset:256
	s_waitcnt vmcnt(0)
	v_mul_f16_sdwa v11, v10, v9 dst_sel:DWORD dst_unused:UNUSED_PAD src0_sel:DWORD src1_sel:WORD_1
	v_mul_f16_sdwa v12, v6, v9 dst_sel:DWORD dst_unused:UNUSED_PAD src0_sel:DWORD src1_sel:WORD_1
	v_fmac_f16_e32 v11, v6, v9
	v_fma_f16 v6, v9, v10, -v12
	v_cvt_f32_f16_e32 v9, v11
	v_cvt_f32_f16_e32 v6, v6
	v_cvt_f64_f32_e32 v[9:10], v9
	v_cvt_f64_f32_e32 v[11:12], v6
	v_mul_f64 v[9:10], v[9:10], s[8:9]
	v_mul_f64 v[11:12], v[11:12], s[8:9]
	v_and_or_b32 v6, 0x1ff, v10, v9
	v_and_or_b32 v11, 0x1ff, v12, v11
	v_lshrrev_b32_e32 v9, 8, v10
	v_bfe_u32 v13, v10, 20, 11
	v_lshrrev_b32_e32 v14, 8, v12
	v_cmp_ne_u32_e32 vcc_lo, 0, v6
	v_bfe_u32 v15, v12, 20, 11
	v_lshrrev_b32_e32 v10, 16, v10
	v_sub_nc_u32_e32 v16, 0x3f1, v13
	v_add_nc_u32_e32 v13, 0xfffffc10, v13
	v_cndmask_b32_e64 v6, 0, 1, vcc_lo
	v_cmp_ne_u32_e32 vcc_lo, 0, v11
	v_lshrrev_b32_e32 v12, 16, v12
	v_and_or_b32 v6, 0xffe, v9, v6
	v_cndmask_b32_e64 v11, 0, 1, vcc_lo
	v_sub_nc_u32_e32 v9, 0x3f1, v15
	v_add_nc_u32_e32 v15, 0xfffffc10, v15
	v_and_or_b32 v11, 0xffe, v14, v11
	v_med3_i32 v14, v16, 0, 13
	v_or_b32_e32 v16, 0x1000, v6
	v_med3_i32 v9, v9, 0, 13
	v_or_b32_e32 v17, 0x1000, v11
	v_lshrrev_b32_e32 v18, v14, v16
	v_lshrrev_b32_e32 v19, v9, v17
	v_lshlrev_b32_e32 v14, v14, v18
	v_lshlrev_b32_e32 v9, v9, v19
	v_cmp_ne_u32_e32 vcc_lo, v14, v16
	v_lshl_or_b32 v16, v13, 12, v6
	v_cndmask_b32_e64 v14, 0, 1, vcc_lo
	v_cmp_ne_u32_e32 vcc_lo, v9, v17
	v_lshl_or_b32 v17, v15, 12, v11
	v_or_b32_e32 v14, v18, v14
	v_cndmask_b32_e64 v9, 0, 1, vcc_lo
	v_cmp_gt_i32_e32 vcc_lo, 1, v13
	v_or_b32_e32 v9, v19, v9
	v_cndmask_b32_e32 v14, v16, v14, vcc_lo
	v_cmp_gt_i32_e32 vcc_lo, 1, v15
	v_and_b32_e32 v16, 7, v14
	v_cndmask_b32_e32 v9, v17, v9, vcc_lo
	v_cmp_ne_u32_e32 vcc_lo, 0, v6
	v_lshrrev_b32_e32 v14, 2, v14
	v_cmp_eq_u32_e64 s0, 3, v16
	v_and_b32_e32 v17, 7, v9
	v_cndmask_b32_e64 v6, 0, 1, vcc_lo
	v_cmp_ne_u32_e32 vcc_lo, 0, v11
	v_lshrrev_b32_e32 v9, 2, v9
	v_cmp_lt_i32_e64 s1, 5, v17
	v_cmp_eq_u32_e64 s2, 3, v17
	v_cndmask_b32_e64 v11, 0, 1, vcc_lo
	v_cmp_lt_i32_e32 vcc_lo, 5, v16
	v_lshl_or_b32 v6, v6, 9, 0x7c00
	v_lshl_or_b32 v11, v11, 9, 0x7c00
	s_or_b32 vcc_lo, s0, vcc_lo
	v_add_co_ci_u32_e32 v14, vcc_lo, 0, v14, vcc_lo
	s_or_b32 vcc_lo, s2, s1
	v_add_co_ci_u32_e32 v9, vcc_lo, 0, v9, vcc_lo
	v_cmp_gt_i32_e32 vcc_lo, 31, v13
	v_cndmask_b32_e32 v14, 0x7c00, v14, vcc_lo
	v_cmp_gt_i32_e32 vcc_lo, 31, v15
	v_cndmask_b32_e32 v9, 0x7c00, v9, vcc_lo
	v_cmp_eq_u32_e32 vcc_lo, 0x40f, v13
	v_cndmask_b32_e32 v6, v14, v6, vcc_lo
	v_cmp_eq_u32_e32 vcc_lo, 0x40f, v15
	v_and_or_b32 v6, 0x8000, v10, v6
	v_cndmask_b32_e32 v9, v9, v11, vcc_lo
	v_and_b32_e32 v10, 0xffff, v6
	v_and_or_b32 v9, 0x8000, v12, v9
	v_add_co_u32 v6, vcc_lo, v7, s6
	v_add_co_ci_u32_e32 v7, vcc_lo, s3, v8, vcc_lo
	v_lshl_or_b32 v8, v9, 16, v10
	global_store_dword v[6:7], v8, off
	global_load_dword v10, v[0:1], off offset:640
	v_add_nc_u32_e32 v8, 0xa00, v44
	ds_read2_b32 v[8:9], v8 offset0:32 offset1:128
	s_waitcnt lgkmcnt(0)
	v_lshrrev_b32_e32 v11, 16, v8
	s_waitcnt vmcnt(0)
	v_mul_f16_sdwa v12, v11, v10 dst_sel:DWORD dst_unused:UNUSED_PAD src0_sel:DWORD src1_sel:WORD_1
	v_mul_f16_sdwa v13, v8, v10 dst_sel:DWORD dst_unused:UNUSED_PAD src0_sel:DWORD src1_sel:WORD_1
	v_fmac_f16_e32 v12, v8, v10
	v_fma_f16 v8, v10, v11, -v13
	v_cvt_f32_f16_e32 v10, v12
	v_cvt_f32_f16_e32 v8, v8
	v_cvt_f64_f32_e32 v[10:11], v10
	v_cvt_f64_f32_e32 v[12:13], v8
	v_mul_f64 v[10:11], v[10:11], s[8:9]
	v_mul_f64 v[12:13], v[12:13], s[8:9]
	v_and_or_b32 v8, 0x1ff, v11, v10
	v_and_or_b32 v12, 0x1ff, v13, v12
	v_lshrrev_b32_e32 v10, 8, v11
	v_bfe_u32 v14, v11, 20, 11
	v_lshrrev_b32_e32 v15, 8, v13
	v_cmp_ne_u32_e32 vcc_lo, 0, v8
	v_bfe_u32 v16, v13, 20, 11
	v_lshrrev_b32_e32 v11, 16, v11
	v_sub_nc_u32_e32 v17, 0x3f1, v14
	v_add_nc_u32_e32 v14, 0xfffffc10, v14
	v_cndmask_b32_e64 v8, 0, 1, vcc_lo
	v_cmp_ne_u32_e32 vcc_lo, 0, v12
	v_lshrrev_b32_e32 v13, 16, v13
	v_and_or_b32 v8, 0xffe, v10, v8
	v_cndmask_b32_e64 v12, 0, 1, vcc_lo
	v_sub_nc_u32_e32 v10, 0x3f1, v16
	v_add_nc_u32_e32 v16, 0xfffffc10, v16
	v_and_or_b32 v12, 0xffe, v15, v12
	v_med3_i32 v15, v17, 0, 13
	v_or_b32_e32 v17, 0x1000, v8
	v_med3_i32 v10, v10, 0, 13
	v_or_b32_e32 v18, 0x1000, v12
	v_lshrrev_b32_e32 v19, v15, v17
	v_lshrrev_b32_e32 v20, v10, v18
	v_lshlrev_b32_e32 v15, v15, v19
	v_lshlrev_b32_e32 v10, v10, v20
	v_cmp_ne_u32_e32 vcc_lo, v15, v17
	v_lshl_or_b32 v17, v14, 12, v8
	v_cndmask_b32_e64 v15, 0, 1, vcc_lo
	v_cmp_ne_u32_e32 vcc_lo, v10, v18
	v_lshl_or_b32 v18, v16, 12, v12
	v_or_b32_e32 v15, v19, v15
	v_cndmask_b32_e64 v10, 0, 1, vcc_lo
	v_cmp_gt_i32_e32 vcc_lo, 1, v14
	v_or_b32_e32 v10, v20, v10
	v_cndmask_b32_e32 v15, v17, v15, vcc_lo
	v_cmp_gt_i32_e32 vcc_lo, 1, v16
	v_and_b32_e32 v17, 7, v15
	v_cndmask_b32_e32 v10, v18, v10, vcc_lo
	v_cmp_ne_u32_e32 vcc_lo, 0, v8
	v_lshrrev_b32_e32 v15, 2, v15
	v_cmp_eq_u32_e64 s0, 3, v17
	v_and_b32_e32 v18, 7, v10
	v_cndmask_b32_e64 v8, 0, 1, vcc_lo
	v_cmp_ne_u32_e32 vcc_lo, 0, v12
	v_lshrrev_b32_e32 v10, 2, v10
	v_cmp_lt_i32_e64 s1, 5, v18
	v_cmp_eq_u32_e64 s2, 3, v18
	v_cndmask_b32_e64 v12, 0, 1, vcc_lo
	v_cmp_lt_i32_e32 vcc_lo, 5, v17
	v_lshl_or_b32 v8, v8, 9, 0x7c00
	v_lshl_or_b32 v12, v12, 9, 0x7c00
	s_or_b32 vcc_lo, s0, vcc_lo
	v_add_co_ci_u32_e32 v15, vcc_lo, 0, v15, vcc_lo
	s_or_b32 vcc_lo, s2, s1
	v_add_co_ci_u32_e32 v10, vcc_lo, 0, v10, vcc_lo
	v_cmp_gt_i32_e32 vcc_lo, 31, v14
	v_cndmask_b32_e32 v15, 0x7c00, v15, vcc_lo
	v_cmp_gt_i32_e32 vcc_lo, 31, v16
	v_cndmask_b32_e32 v10, 0x7c00, v10, vcc_lo
	v_cmp_eq_u32_e32 vcc_lo, 0x40f, v14
	v_cndmask_b32_e32 v8, v15, v8, vcc_lo
	v_cmp_eq_u32_e32 vcc_lo, 0x40f, v16
	v_and_or_b32 v8, 0x8000, v11, v8
	v_cndmask_b32_e32 v10, v10, v12, vcc_lo
	v_add_co_u32 v6, vcc_lo, v6, s6
	v_add_co_ci_u32_e32 v7, vcc_lo, s3, v7, vcc_lo
	v_and_or_b32 v10, 0x8000, v13, v10
	v_and_b32_e32 v8, 0xffff, v8
	v_lshl_or_b32 v8, v10, 16, v8
	v_lshlrev_b32_e32 v10, 2, v182
	global_store_dword v[6:7], v8, off
	global_load_dword v8, v10, s[12:13]
	v_lshrrev_b32_e32 v10, 16, v9
	s_waitcnt vmcnt(0)
	v_mul_f16_sdwa v11, v10, v8 dst_sel:DWORD dst_unused:UNUSED_PAD src0_sel:DWORD src1_sel:WORD_1
	v_mul_f16_sdwa v12, v9, v8 dst_sel:DWORD dst_unused:UNUSED_PAD src0_sel:DWORD src1_sel:WORD_1
	v_fmac_f16_e32 v11, v9, v8
	v_fma_f16 v8, v8, v10, -v12
	v_cvt_f32_f16_e32 v9, v11
	v_cvt_f32_f16_e32 v10, v8
	v_cvt_f64_f32_e32 v[8:9], v9
	v_cvt_f64_f32_e32 v[10:11], v10
	v_mul_f64 v[8:9], v[8:9], s[8:9]
	v_mul_f64 v[10:11], v[10:11], s[8:9]
	v_and_or_b32 v8, 0x1ff, v9, v8
	v_and_or_b32 v10, 0x1ff, v11, v10
	v_lshrrev_b32_e32 v12, 8, v9
	v_bfe_u32 v14, v9, 20, 11
	v_bfe_u32 v15, v11, 20, 11
	v_cmp_ne_u32_e32 vcc_lo, 0, v8
	v_lshrrev_b32_e32 v13, 8, v11
	v_lshrrev_b32_e32 v11, 16, v11
	v_sub_nc_u32_e32 v16, 0x3f1, v14
	v_sub_nc_u32_e32 v17, 0x3f1, v15
	v_cndmask_b32_e64 v8, 0, 1, vcc_lo
	v_cmp_ne_u32_e32 vcc_lo, 0, v10
	v_add_nc_u32_e32 v15, 0xfffffc10, v15
	v_and_or_b32 v18, 0xffe, v12, v8
	v_cndmask_b32_e64 v10, 0, 1, vcc_lo
	v_med3_i32 v8, v16, 0, 13
	v_med3_i32 v16, v17, 0, 13
	v_or_b32_e32 v17, 0x1000, v18
	v_and_or_b32 v10, 0xffe, v13, v10
	v_mad_u64_u32 v[12:13], null, s4, v182, 0
	v_lshrrev_b32_e32 v20, v8, v17
	v_or_b32_e32 v19, 0x1000, v10
	v_lshlrev_b32_e32 v22, v8, v20
	v_lshrrev_b32_e32 v21, v16, v19
	v_mov_b32_e32 v8, v13
	v_cmp_ne_u32_e32 vcc_lo, v22, v17
	v_lshlrev_b32_e32 v13, v16, v21
	v_add_nc_u32_e32 v16, 0xfffffc10, v14
	v_cndmask_b32_e64 v17, 0, 1, vcc_lo
	v_cmp_ne_u32_e32 vcc_lo, v13, v19
	v_mad_u64_u32 v[13:14], null, s5, v182, v[8:9]
	v_lshl_or_b32 v8, v16, 12, v18
	v_or_b32_e32 v14, v20, v17
	v_cndmask_b32_e64 v19, 0, 1, vcc_lo
	v_cmp_gt_i32_e32 vcc_lo, 1, v16
	v_lshl_or_b32 v17, v15, 12, v10
	v_lshrrev_b32_e32 v9, 16, v9
	v_or_b32_e32 v19, v21, v19
	v_cndmask_b32_e32 v8, v8, v14, vcc_lo
	v_cmp_gt_i32_e32 vcc_lo, 1, v15
	v_cndmask_b32_e32 v14, v17, v19, vcc_lo
	v_cmp_ne_u32_e32 vcc_lo, 0, v18
	v_and_b32_e32 v18, 7, v8
	v_lshrrev_b32_e32 v8, 2, v8
	v_and_b32_e32 v19, 7, v14
	v_cndmask_b32_e64 v17, 0, 1, vcc_lo
	v_cmp_ne_u32_e32 vcc_lo, 0, v10
	v_cmp_eq_u32_e64 s0, 3, v18
	v_lshrrev_b32_e32 v14, 2, v14
	v_cmp_lt_i32_e64 s1, 5, v19
	v_cmp_eq_u32_e64 s2, 3, v19
	v_cndmask_b32_e64 v10, 0, 1, vcc_lo
	v_cmp_lt_i32_e32 vcc_lo, 5, v18
	v_lshl_or_b32 v17, v17, 9, 0x7c00
	v_lshl_or_b32 v10, v10, 9, 0x7c00
	s_or_b32 vcc_lo, s0, vcc_lo
	v_add_co_ci_u32_e32 v8, vcc_lo, 0, v8, vcc_lo
	s_or_b32 vcc_lo, s2, s1
	v_add_co_ci_u32_e32 v14, vcc_lo, 0, v14, vcc_lo
	v_cmp_gt_i32_e32 vcc_lo, 31, v16
	v_cndmask_b32_e32 v8, 0x7c00, v8, vcc_lo
	v_cmp_gt_i32_e32 vcc_lo, 31, v15
	v_cndmask_b32_e32 v14, 0x7c00, v14, vcc_lo
	v_cmp_eq_u32_e32 vcc_lo, 0x40f, v16
	v_cndmask_b32_e32 v8, v8, v17, vcc_lo
	v_cmp_eq_u32_e32 vcc_lo, 0x40f, v15
	v_cndmask_b32_e32 v10, v14, v10, vcc_lo
	v_and_or_b32 v14, 0x8000, v9, v8
	v_lshlrev_b64 v[8:9], 2, v[12:13]
	v_and_or_b32 v10, 0x8000, v11, v10
	v_and_b32_e32 v11, 0xffff, v14
	v_add_co_u32 v8, vcc_lo, v2, v8
	v_add_co_ci_u32_e32 v9, vcc_lo, v3, v9, vcc_lo
	v_lshl_or_b32 v10, v10, 16, v11
	global_store_dword v[8:9], v10, off
	global_load_dword v10, v[0:1], off offset:1408
	v_add_nc_u32_e32 v8, 0xc00, v44
	ds_read2_b32 v[8:9], v8 offset0:96 offset1:192
	s_waitcnt lgkmcnt(0)
	v_lshrrev_b32_e32 v11, 16, v8
	s_waitcnt vmcnt(0)
	v_mul_f16_sdwa v12, v11, v10 dst_sel:DWORD dst_unused:UNUSED_PAD src0_sel:DWORD src1_sel:WORD_1
	v_mul_f16_sdwa v13, v8, v10 dst_sel:DWORD dst_unused:UNUSED_PAD src0_sel:DWORD src1_sel:WORD_1
	v_fmac_f16_e32 v12, v8, v10
	v_fma_f16 v8, v10, v11, -v13
	v_cvt_f32_f16_e32 v10, v12
	v_cvt_f32_f16_e32 v8, v8
	v_cvt_f64_f32_e32 v[10:11], v10
	v_cvt_f64_f32_e32 v[12:13], v8
	v_mul_f64 v[10:11], v[10:11], s[8:9]
	v_mul_f64 v[12:13], v[12:13], s[8:9]
	v_and_or_b32 v8, 0x1ff, v11, v10
	v_and_or_b32 v12, 0x1ff, v13, v12
	v_lshrrev_b32_e32 v10, 8, v11
	v_bfe_u32 v14, v11, 20, 11
	v_lshrrev_b32_e32 v15, 8, v13
	v_cmp_ne_u32_e32 vcc_lo, 0, v8
	v_bfe_u32 v16, v13, 20, 11
	v_lshrrev_b32_e32 v11, 16, v11
	v_sub_nc_u32_e32 v17, 0x3f1, v14
	v_add_nc_u32_e32 v14, 0xfffffc10, v14
	v_cndmask_b32_e64 v8, 0, 1, vcc_lo
	v_cmp_ne_u32_e32 vcc_lo, 0, v12
	v_lshrrev_b32_e32 v13, 16, v13
	v_and_or_b32 v8, 0xffe, v10, v8
	v_cndmask_b32_e64 v12, 0, 1, vcc_lo
	v_sub_nc_u32_e32 v10, 0x3f1, v16
	v_add_nc_u32_e32 v16, 0xfffffc10, v16
	v_and_or_b32 v12, 0xffe, v15, v12
	v_med3_i32 v15, v17, 0, 13
	v_or_b32_e32 v17, 0x1000, v8
	v_med3_i32 v10, v10, 0, 13
	v_or_b32_e32 v18, 0x1000, v12
	v_lshrrev_b32_e32 v19, v15, v17
	v_lshrrev_b32_e32 v20, v10, v18
	v_lshlrev_b32_e32 v15, v15, v19
	v_lshlrev_b32_e32 v10, v10, v20
	v_cmp_ne_u32_e32 vcc_lo, v15, v17
	v_lshl_or_b32 v17, v14, 12, v8
	v_cndmask_b32_e64 v15, 0, 1, vcc_lo
	v_cmp_ne_u32_e32 vcc_lo, v10, v18
	v_lshl_or_b32 v18, v16, 12, v12
	v_or_b32_e32 v15, v19, v15
	v_cndmask_b32_e64 v10, 0, 1, vcc_lo
	v_cmp_gt_i32_e32 vcc_lo, 1, v14
	v_or_b32_e32 v10, v20, v10
	v_cndmask_b32_e32 v15, v17, v15, vcc_lo
	v_cmp_gt_i32_e32 vcc_lo, 1, v16
	v_and_b32_e32 v17, 7, v15
	v_cndmask_b32_e32 v10, v18, v10, vcc_lo
	v_cmp_ne_u32_e32 vcc_lo, 0, v8
	v_lshrrev_b32_e32 v15, 2, v15
	v_cmp_eq_u32_e64 s0, 3, v17
	v_and_b32_e32 v18, 7, v10
	v_cndmask_b32_e64 v8, 0, 1, vcc_lo
	v_cmp_ne_u32_e32 vcc_lo, 0, v12
	v_lshrrev_b32_e32 v10, 2, v10
	v_cmp_lt_i32_e64 s1, 5, v18
	v_cmp_eq_u32_e64 s2, 3, v18
	v_cndmask_b32_e64 v12, 0, 1, vcc_lo
	v_cmp_lt_i32_e32 vcc_lo, 5, v17
	v_lshl_or_b32 v8, v8, 9, 0x7c00
	v_lshl_or_b32 v12, v12, 9, 0x7c00
	s_or_b32 vcc_lo, s0, vcc_lo
	v_add_co_ci_u32_e32 v15, vcc_lo, 0, v15, vcc_lo
	s_or_b32 vcc_lo, s2, s1
	v_add_co_ci_u32_e32 v10, vcc_lo, 0, v10, vcc_lo
	v_cmp_gt_i32_e32 vcc_lo, 31, v14
	v_cndmask_b32_e32 v15, 0x7c00, v15, vcc_lo
	v_cmp_gt_i32_e32 vcc_lo, 31, v16
	v_cndmask_b32_e32 v10, 0x7c00, v10, vcc_lo
	v_cmp_eq_u32_e32 vcc_lo, 0x40f, v14
	v_cndmask_b32_e32 v8, v15, v8, vcc_lo
	v_cmp_eq_u32_e32 vcc_lo, 0x40f, v16
	v_and_or_b32 v8, 0x8000, v11, v8
	v_cndmask_b32_e32 v10, v10, v12, vcc_lo
	v_add_co_u32 v6, vcc_lo, v6, s10
	v_add_co_ci_u32_e32 v7, vcc_lo, s7, v7, vcc_lo
	v_and_or_b32 v10, 0x8000, v13, v10
	v_and_b32_e32 v8, 0xffff, v8
	v_lshl_or_b32 v8, v10, 16, v8
	global_store_dword v[6:7], v8, off
	global_load_dword v0, v[0:1], off offset:1792
	v_lshrrev_b32_e32 v1, 16, v9
	s_waitcnt vmcnt(0)
	v_mul_f16_sdwa v8, v1, v0 dst_sel:DWORD dst_unused:UNUSED_PAD src0_sel:DWORD src1_sel:WORD_1
	v_mul_f16_sdwa v10, v9, v0 dst_sel:DWORD dst_unused:UNUSED_PAD src0_sel:DWORD src1_sel:WORD_1
	v_fmac_f16_e32 v8, v9, v0
	v_fma_f16 v0, v0, v1, -v10
	v_cvt_f32_f16_e32 v1, v8
	v_cvt_f32_f16_e32 v8, v0
	v_cvt_f64_f32_e32 v[0:1], v1
	v_cvt_f64_f32_e32 v[8:9], v8
	v_mul_f64 v[0:1], v[0:1], s[8:9]
	v_mul_f64 v[8:9], v[8:9], s[8:9]
	v_and_or_b32 v0, 0x1ff, v1, v0
	v_and_or_b32 v8, 0x1ff, v9, v8
	v_lshrrev_b32_e32 v10, 8, v1
	v_bfe_u32 v11, v1, 20, 11
	v_lshrrev_b32_e32 v12, 8, v9
	v_cmp_ne_u32_e32 vcc_lo, 0, v0
	v_bfe_u32 v13, v9, 20, 11
	v_lshrrev_b32_e32 v1, 16, v1
	v_sub_nc_u32_e32 v14, 0x3f1, v11
	v_add_nc_u32_e32 v11, 0xfffffc10, v11
	v_cndmask_b32_e64 v0, 0, 1, vcc_lo
	v_cmp_ne_u32_e32 vcc_lo, 0, v8
	v_lshrrev_b32_e32 v9, 16, v9
	v_and_or_b32 v0, 0xffe, v10, v0
	v_cndmask_b32_e64 v8, 0, 1, vcc_lo
	v_sub_nc_u32_e32 v10, 0x3f1, v13
	v_add_nc_u32_e32 v13, 0xfffffc10, v13
	v_and_or_b32 v8, 0xffe, v12, v8
	v_med3_i32 v12, v14, 0, 13
	v_or_b32_e32 v14, 0x1000, v0
	v_med3_i32 v10, v10, 0, 13
	v_or_b32_e32 v15, 0x1000, v8
	v_lshrrev_b32_e32 v16, v12, v14
	v_lshrrev_b32_e32 v17, v10, v15
	v_lshlrev_b32_e32 v12, v12, v16
	v_lshlrev_b32_e32 v10, v10, v17
	v_cmp_ne_u32_e32 vcc_lo, v12, v14
	v_lshl_or_b32 v14, v11, 12, v0
	v_cndmask_b32_e64 v12, 0, 1, vcc_lo
	v_cmp_ne_u32_e32 vcc_lo, v10, v15
	v_lshl_or_b32 v15, v13, 12, v8
	v_or_b32_e32 v12, v16, v12
	v_cndmask_b32_e64 v10, 0, 1, vcc_lo
	v_cmp_gt_i32_e32 vcc_lo, 1, v11
	v_or_b32_e32 v10, v17, v10
	v_cndmask_b32_e32 v12, v14, v12, vcc_lo
	v_cmp_gt_i32_e32 vcc_lo, 1, v13
	v_and_b32_e32 v14, 7, v12
	v_cndmask_b32_e32 v10, v15, v10, vcc_lo
	v_cmp_ne_u32_e32 vcc_lo, 0, v0
	v_lshrrev_b32_e32 v12, 2, v12
	v_cmp_eq_u32_e64 s0, 3, v14
	v_and_b32_e32 v15, 7, v10
	v_cndmask_b32_e64 v0, 0, 1, vcc_lo
	v_cmp_ne_u32_e32 vcc_lo, 0, v8
	v_lshrrev_b32_e32 v10, 2, v10
	v_cmp_lt_i32_e64 s1, 5, v15
	v_cmp_eq_u32_e64 s2, 3, v15
	v_cndmask_b32_e64 v8, 0, 1, vcc_lo
	v_cmp_lt_i32_e32 vcc_lo, 5, v14
	v_lshl_or_b32 v0, v0, 9, 0x7c00
	v_lshl_or_b32 v8, v8, 9, 0x7c00
	s_or_b32 vcc_lo, s0, vcc_lo
	v_add_co_ci_u32_e32 v12, vcc_lo, 0, v12, vcc_lo
	s_or_b32 vcc_lo, s2, s1
	v_add_co_ci_u32_e32 v10, vcc_lo, 0, v10, vcc_lo
	v_cmp_gt_i32_e32 vcc_lo, 31, v11
	v_cndmask_b32_e32 v12, 0x7c00, v12, vcc_lo
	v_cmp_gt_i32_e32 vcc_lo, 31, v13
	v_cndmask_b32_e32 v10, 0x7c00, v10, vcc_lo
	v_cmp_eq_u32_e32 vcc_lo, 0x40f, v11
	v_cndmask_b32_e32 v0, v12, v0, vcc_lo
	v_cmp_eq_u32_e32 vcc_lo, 0x40f, v13
	v_and_or_b32 v0, 0x8000, v1, v0
	v_cndmask_b32_e32 v8, v10, v8, vcc_lo
	v_add_co_u32 v6, vcc_lo, v6, s6
	v_add_co_ci_u32_e32 v7, vcc_lo, s3, v7, vcc_lo
	v_and_or_b32 v1, 0x8000, v9, v8
	v_and_b32_e32 v0, 0xffff, v0
	v_lshl_or_b32 v8, v1, 16, v0
	v_add_co_u32 v0, vcc_lo, 0x1000, v4
	v_add_co_ci_u32_e32 v1, vcc_lo, 0, v5, vcc_lo
	global_store_dword v[6:7], v8, off
	v_add_nc_u32_e32 v4, 0x1000, v44
	global_load_dword v8, v[0:1], off offset:128
	ds_read2_b32 v[4:5], v4 offset0:32 offset1:128
	s_waitcnt lgkmcnt(0)
	v_lshrrev_b32_e32 v9, 16, v4
	s_waitcnt vmcnt(0)
	v_mul_f16_sdwa v10, v9, v8 dst_sel:DWORD dst_unused:UNUSED_PAD src0_sel:DWORD src1_sel:WORD_1
	v_mul_f16_sdwa v11, v4, v8 dst_sel:DWORD dst_unused:UNUSED_PAD src0_sel:DWORD src1_sel:WORD_1
	v_fmac_f16_e32 v10, v4, v8
	v_fma_f16 v4, v8, v9, -v11
	v_cvt_f32_f16_e32 v8, v10
	v_cvt_f32_f16_e32 v4, v4
	v_cvt_f64_f32_e32 v[8:9], v8
	v_cvt_f64_f32_e32 v[10:11], v4
	v_mul_f64 v[8:9], v[8:9], s[8:9]
	v_mul_f64 v[10:11], v[10:11], s[8:9]
	v_and_or_b32 v4, 0x1ff, v9, v8
	v_and_or_b32 v10, 0x1ff, v11, v10
	v_lshrrev_b32_e32 v8, 8, v9
	v_bfe_u32 v12, v9, 20, 11
	v_lshrrev_b32_e32 v13, 8, v11
	v_cmp_ne_u32_e32 vcc_lo, 0, v4
	v_bfe_u32 v14, v11, 20, 11
	v_lshrrev_b32_e32 v9, 16, v9
	v_sub_nc_u32_e32 v15, 0x3f1, v12
	v_add_nc_u32_e32 v12, 0xfffffc10, v12
	v_cndmask_b32_e64 v4, 0, 1, vcc_lo
	v_cmp_ne_u32_e32 vcc_lo, 0, v10
	v_lshrrev_b32_e32 v11, 16, v11
	v_and_or_b32 v4, 0xffe, v8, v4
	v_cndmask_b32_e64 v10, 0, 1, vcc_lo
	v_sub_nc_u32_e32 v8, 0x3f1, v14
	v_add_nc_u32_e32 v14, 0xfffffc10, v14
	v_and_or_b32 v10, 0xffe, v13, v10
	v_med3_i32 v13, v15, 0, 13
	v_or_b32_e32 v15, 0x1000, v4
	v_med3_i32 v8, v8, 0, 13
	v_or_b32_e32 v16, 0x1000, v10
	v_lshrrev_b32_e32 v17, v13, v15
	v_lshrrev_b32_e32 v18, v8, v16
	v_lshlrev_b32_e32 v13, v13, v17
	v_lshlrev_b32_e32 v8, v8, v18
	v_cmp_ne_u32_e32 vcc_lo, v13, v15
	v_lshl_or_b32 v15, v12, 12, v4
	v_cndmask_b32_e64 v13, 0, 1, vcc_lo
	v_cmp_ne_u32_e32 vcc_lo, v8, v16
	v_lshl_or_b32 v16, v14, 12, v10
	v_or_b32_e32 v13, v17, v13
	v_cndmask_b32_e64 v8, 0, 1, vcc_lo
	v_cmp_gt_i32_e32 vcc_lo, 1, v12
	v_or_b32_e32 v8, v18, v8
	v_cndmask_b32_e32 v13, v15, v13, vcc_lo
	v_cmp_gt_i32_e32 vcc_lo, 1, v14
	v_and_b32_e32 v15, 7, v13
	v_cndmask_b32_e32 v8, v16, v8, vcc_lo
	v_cmp_ne_u32_e32 vcc_lo, 0, v4
	v_lshrrev_b32_e32 v13, 2, v13
	v_cmp_eq_u32_e64 s0, 3, v15
	v_and_b32_e32 v16, 7, v8
	v_cndmask_b32_e64 v4, 0, 1, vcc_lo
	v_cmp_ne_u32_e32 vcc_lo, 0, v10
	v_lshrrev_b32_e32 v8, 2, v8
	v_cmp_lt_i32_e64 s1, 5, v16
	v_cmp_eq_u32_e64 s2, 3, v16
	v_cndmask_b32_e64 v10, 0, 1, vcc_lo
	v_cmp_lt_i32_e32 vcc_lo, 5, v15
	v_lshl_or_b32 v4, v4, 9, 0x7c00
	v_lshl_or_b32 v10, v10, 9, 0x7c00
	s_or_b32 vcc_lo, s0, vcc_lo
	v_add_co_ci_u32_e32 v13, vcc_lo, 0, v13, vcc_lo
	s_or_b32 vcc_lo, s2, s1
	v_add_co_ci_u32_e32 v8, vcc_lo, 0, v8, vcc_lo
	v_cmp_gt_i32_e32 vcc_lo, 31, v12
	v_cndmask_b32_e32 v13, 0x7c00, v13, vcc_lo
	v_cmp_gt_i32_e32 vcc_lo, 31, v14
	v_cndmask_b32_e32 v8, 0x7c00, v8, vcc_lo
	v_cmp_eq_u32_e32 vcc_lo, 0x40f, v12
	v_cndmask_b32_e32 v4, v13, v4, vcc_lo
	v_cmp_eq_u32_e32 vcc_lo, 0x40f, v14
	v_and_or_b32 v4, 0x8000, v9, v4
	v_cndmask_b32_e32 v8, v8, v10, vcc_lo
	v_add_co_u32 v6, vcc_lo, v6, s6
	v_add_co_ci_u32_e32 v7, vcc_lo, s3, v7, vcc_lo
	v_and_or_b32 v8, 0x8000, v11, v8
	v_and_b32_e32 v4, 0xffff, v4
	v_lshl_or_b32 v4, v8, 16, v4
	v_lshlrev_b32_e32 v8, 2, v181
	global_store_dword v[6:7], v4, off
	global_load_dword v4, v8, s[12:13]
	v_lshrrev_b32_e32 v8, 16, v5
	s_waitcnt vmcnt(0)
	v_mul_f16_sdwa v9, v8, v4 dst_sel:DWORD dst_unused:UNUSED_PAD src0_sel:DWORD src1_sel:WORD_1
	v_mul_f16_sdwa v10, v5, v4 dst_sel:DWORD dst_unused:UNUSED_PAD src0_sel:DWORD src1_sel:WORD_1
	v_fmac_f16_e32 v9, v5, v4
	v_fma_f16 v4, v4, v8, -v10
	v_cvt_f32_f16_e32 v5, v9
	v_cvt_f32_f16_e32 v8, v4
	v_cvt_f64_f32_e32 v[4:5], v5
	v_cvt_f64_f32_e32 v[8:9], v8
	v_mul_f64 v[4:5], v[4:5], s[8:9]
	v_mul_f64 v[8:9], v[8:9], s[8:9]
	v_and_or_b32 v4, 0x1ff, v5, v4
	v_and_or_b32 v8, 0x1ff, v9, v8
	v_lshrrev_b32_e32 v10, 8, v5
	v_bfe_u32 v12, v5, 20, 11
	v_bfe_u32 v13, v9, 20, 11
	v_cmp_ne_u32_e32 vcc_lo, 0, v4
	v_lshrrev_b32_e32 v11, 8, v9
	v_lshrrev_b32_e32 v9, 16, v9
	v_sub_nc_u32_e32 v14, 0x3f1, v12
	v_sub_nc_u32_e32 v15, 0x3f1, v13
	v_cndmask_b32_e64 v4, 0, 1, vcc_lo
	v_cmp_ne_u32_e32 vcc_lo, 0, v8
	v_add_nc_u32_e32 v13, 0xfffffc10, v13
	v_and_or_b32 v16, 0xffe, v10, v4
	v_cndmask_b32_e64 v8, 0, 1, vcc_lo
	v_med3_i32 v4, v14, 0, 13
	v_med3_i32 v14, v15, 0, 13
	v_or_b32_e32 v15, 0x1000, v16
	v_and_or_b32 v8, 0xffe, v11, v8
	v_mad_u64_u32 v[10:11], null, s4, v181, 0
	v_lshrrev_b32_e32 v18, v4, v15
	v_or_b32_e32 v17, 0x1000, v8
	v_lshlrev_b32_e32 v20, v4, v18
	v_lshrrev_b32_e32 v19, v14, v17
	v_mov_b32_e32 v4, v11
	v_cmp_ne_u32_e32 vcc_lo, v20, v15
	v_lshlrev_b32_e32 v11, v14, v19
	v_add_nc_u32_e32 v14, 0xfffffc10, v12
	v_cndmask_b32_e64 v15, 0, 1, vcc_lo
	v_cmp_ne_u32_e32 vcc_lo, v11, v17
	v_mad_u64_u32 v[11:12], null, s5, v181, v[4:5]
	v_lshl_or_b32 v4, v14, 12, v16
	v_or_b32_e32 v12, v18, v15
	v_cndmask_b32_e64 v17, 0, 1, vcc_lo
	v_cmp_gt_i32_e32 vcc_lo, 1, v14
	v_lshl_or_b32 v15, v13, 12, v8
	v_lshrrev_b32_e32 v5, 16, v5
	v_or_b32_e32 v17, v19, v17
	v_cndmask_b32_e32 v4, v4, v12, vcc_lo
	v_cmp_gt_i32_e32 vcc_lo, 1, v13
	v_cndmask_b32_e32 v12, v15, v17, vcc_lo
	v_cmp_ne_u32_e32 vcc_lo, 0, v16
	v_and_b32_e32 v16, 7, v4
	v_lshrrev_b32_e32 v4, 2, v4
	v_and_b32_e32 v17, 7, v12
	v_cndmask_b32_e64 v15, 0, 1, vcc_lo
	v_cmp_ne_u32_e32 vcc_lo, 0, v8
	v_cmp_eq_u32_e64 s0, 3, v16
	v_lshrrev_b32_e32 v12, 2, v12
	v_cmp_lt_i32_e64 s1, 5, v17
	v_cmp_eq_u32_e64 s2, 3, v17
	v_cndmask_b32_e64 v8, 0, 1, vcc_lo
	v_cmp_lt_i32_e32 vcc_lo, 5, v16
	v_lshl_or_b32 v15, v15, 9, 0x7c00
	v_lshl_or_b32 v8, v8, 9, 0x7c00
	s_or_b32 vcc_lo, s0, vcc_lo
	v_add_co_ci_u32_e32 v4, vcc_lo, 0, v4, vcc_lo
	s_or_b32 vcc_lo, s2, s1
	v_add_co_ci_u32_e32 v12, vcc_lo, 0, v12, vcc_lo
	v_cmp_gt_i32_e32 vcc_lo, 31, v14
	v_cndmask_b32_e32 v4, 0x7c00, v4, vcc_lo
	v_cmp_gt_i32_e32 vcc_lo, 31, v13
	v_cndmask_b32_e32 v12, 0x7c00, v12, vcc_lo
	v_cmp_eq_u32_e32 vcc_lo, 0x40f, v14
	v_cndmask_b32_e32 v4, v4, v15, vcc_lo
	v_cmp_eq_u32_e32 vcc_lo, 0x40f, v13
	v_cndmask_b32_e32 v8, v12, v8, vcc_lo
	v_and_or_b32 v12, 0x8000, v5, v4
	v_lshlrev_b64 v[4:5], 2, v[10:11]
	v_and_or_b32 v8, 0x8000, v9, v8
	v_and_b32_e32 v9, 0xffff, v12
	v_add_co_u32 v4, vcc_lo, v2, v4
	v_add_co_ci_u32_e32 v5, vcc_lo, v3, v5, vcc_lo
	v_lshl_or_b32 v8, v8, 16, v9
	global_store_dword v[4:5], v8, off
	global_load_dword v8, v[0:1], off offset:896
	v_add_nc_u32_e32 v4, 0x1200, v44
	ds_read2_b32 v[4:5], v4 offset0:96 offset1:192
	s_waitcnt lgkmcnt(0)
	v_lshrrev_b32_e32 v9, 16, v4
	s_waitcnt vmcnt(0)
	v_mul_f16_sdwa v10, v9, v8 dst_sel:DWORD dst_unused:UNUSED_PAD src0_sel:DWORD src1_sel:WORD_1
	v_mul_f16_sdwa v11, v4, v8 dst_sel:DWORD dst_unused:UNUSED_PAD src0_sel:DWORD src1_sel:WORD_1
	v_fmac_f16_e32 v10, v4, v8
	v_fma_f16 v4, v8, v9, -v11
	v_cvt_f32_f16_e32 v8, v10
	v_cvt_f32_f16_e32 v4, v4
	v_cvt_f64_f32_e32 v[8:9], v8
	v_cvt_f64_f32_e32 v[10:11], v4
	v_mul_f64 v[8:9], v[8:9], s[8:9]
	v_mul_f64 v[10:11], v[10:11], s[8:9]
	v_and_or_b32 v4, 0x1ff, v9, v8
	v_and_or_b32 v10, 0x1ff, v11, v10
	v_lshrrev_b32_e32 v8, 8, v9
	v_bfe_u32 v12, v9, 20, 11
	v_lshrrev_b32_e32 v13, 8, v11
	v_cmp_ne_u32_e32 vcc_lo, 0, v4
	v_bfe_u32 v14, v11, 20, 11
	v_lshrrev_b32_e32 v9, 16, v9
	v_sub_nc_u32_e32 v15, 0x3f1, v12
	v_add_nc_u32_e32 v12, 0xfffffc10, v12
	v_cndmask_b32_e64 v4, 0, 1, vcc_lo
	v_cmp_ne_u32_e32 vcc_lo, 0, v10
	v_lshrrev_b32_e32 v11, 16, v11
	v_and_or_b32 v4, 0xffe, v8, v4
	v_cndmask_b32_e64 v10, 0, 1, vcc_lo
	v_sub_nc_u32_e32 v8, 0x3f1, v14
	v_add_nc_u32_e32 v14, 0xfffffc10, v14
	v_and_or_b32 v10, 0xffe, v13, v10
	v_med3_i32 v13, v15, 0, 13
	v_or_b32_e32 v15, 0x1000, v4
	v_med3_i32 v8, v8, 0, 13
	v_or_b32_e32 v16, 0x1000, v10
	v_lshrrev_b32_e32 v17, v13, v15
	v_lshrrev_b32_e32 v18, v8, v16
	v_lshlrev_b32_e32 v13, v13, v17
	v_lshlrev_b32_e32 v8, v8, v18
	v_cmp_ne_u32_e32 vcc_lo, v13, v15
	v_lshl_or_b32 v15, v12, 12, v4
	v_cndmask_b32_e64 v13, 0, 1, vcc_lo
	v_cmp_ne_u32_e32 vcc_lo, v8, v16
	v_lshl_or_b32 v16, v14, 12, v10
	v_or_b32_e32 v13, v17, v13
	v_cndmask_b32_e64 v8, 0, 1, vcc_lo
	v_cmp_gt_i32_e32 vcc_lo, 1, v12
	v_or_b32_e32 v8, v18, v8
	v_cndmask_b32_e32 v13, v15, v13, vcc_lo
	v_cmp_gt_i32_e32 vcc_lo, 1, v14
	v_and_b32_e32 v15, 7, v13
	v_cndmask_b32_e32 v8, v16, v8, vcc_lo
	v_cmp_ne_u32_e32 vcc_lo, 0, v4
	v_lshrrev_b32_e32 v13, 2, v13
	v_cmp_eq_u32_e64 s0, 3, v15
	v_and_b32_e32 v16, 7, v8
	v_cndmask_b32_e64 v4, 0, 1, vcc_lo
	v_cmp_ne_u32_e32 vcc_lo, 0, v10
	v_lshrrev_b32_e32 v8, 2, v8
	v_cmp_lt_i32_e64 s1, 5, v16
	v_cmp_eq_u32_e64 s2, 3, v16
	v_cndmask_b32_e64 v10, 0, 1, vcc_lo
	v_cmp_lt_i32_e32 vcc_lo, 5, v15
	v_lshl_or_b32 v4, v4, 9, 0x7c00
	v_lshl_or_b32 v10, v10, 9, 0x7c00
	s_or_b32 vcc_lo, s0, vcc_lo
	v_add_co_ci_u32_e32 v13, vcc_lo, 0, v13, vcc_lo
	s_or_b32 vcc_lo, s2, s1
	v_add_co_ci_u32_e32 v8, vcc_lo, 0, v8, vcc_lo
	v_cmp_gt_i32_e32 vcc_lo, 31, v12
	v_cndmask_b32_e32 v13, 0x7c00, v13, vcc_lo
	v_cmp_gt_i32_e32 vcc_lo, 31, v14
	v_cndmask_b32_e32 v8, 0x7c00, v8, vcc_lo
	v_cmp_eq_u32_e32 vcc_lo, 0x40f, v12
	v_cndmask_b32_e32 v4, v13, v4, vcc_lo
	v_cmp_eq_u32_e32 vcc_lo, 0x40f, v14
	v_and_or_b32 v4, 0x8000, v9, v4
	v_cndmask_b32_e32 v8, v8, v10, vcc_lo
	v_add_co_u32 v6, vcc_lo, v6, s10
	v_add_co_ci_u32_e32 v7, vcc_lo, s7, v7, vcc_lo
	v_and_or_b32 v8, 0x8000, v11, v8
	v_and_b32_e32 v4, 0xffff, v4
	v_lshl_or_b32 v4, v8, 16, v4
	v_lshrrev_b32_e32 v8, 16, v5
	global_store_dword v[6:7], v4, off
	global_load_dword v4, v[0:1], off offset:1280
	s_waitcnt vmcnt(0)
	v_mul_f16_sdwa v9, v8, v4 dst_sel:DWORD dst_unused:UNUSED_PAD src0_sel:DWORD src1_sel:WORD_1
	v_mul_f16_sdwa v10, v5, v4 dst_sel:DWORD dst_unused:UNUSED_PAD src0_sel:DWORD src1_sel:WORD_1
	v_fmac_f16_e32 v9, v5, v4
	v_fma_f16 v4, v4, v8, -v10
	v_cvt_f32_f16_e32 v5, v9
	v_cvt_f32_f16_e32 v8, v4
	v_cvt_f64_f32_e32 v[4:5], v5
	v_cvt_f64_f32_e32 v[8:9], v8
	v_mul_f64 v[4:5], v[4:5], s[8:9]
	v_mul_f64 v[8:9], v[8:9], s[8:9]
	v_and_or_b32 v4, 0x1ff, v5, v4
	v_and_or_b32 v8, 0x1ff, v9, v8
	v_lshrrev_b32_e32 v10, 8, v5
	v_bfe_u32 v11, v5, 20, 11
	v_lshrrev_b32_e32 v12, 8, v9
	v_cmp_ne_u32_e32 vcc_lo, 0, v4
	v_bfe_u32 v13, v9, 20, 11
	v_lshrrev_b32_e32 v5, 16, v5
	v_sub_nc_u32_e32 v14, 0x3f1, v11
	v_add_nc_u32_e32 v11, 0xfffffc10, v11
	v_cndmask_b32_e64 v4, 0, 1, vcc_lo
	v_cmp_ne_u32_e32 vcc_lo, 0, v8
	v_lshrrev_b32_e32 v9, 16, v9
	v_and_or_b32 v4, 0xffe, v10, v4
	v_cndmask_b32_e64 v8, 0, 1, vcc_lo
	v_sub_nc_u32_e32 v10, 0x3f1, v13
	v_add_nc_u32_e32 v13, 0xfffffc10, v13
	v_and_or_b32 v8, 0xffe, v12, v8
	v_med3_i32 v12, v14, 0, 13
	v_or_b32_e32 v14, 0x1000, v4
	v_med3_i32 v10, v10, 0, 13
	v_or_b32_e32 v15, 0x1000, v8
	v_lshrrev_b32_e32 v16, v12, v14
	v_lshrrev_b32_e32 v17, v10, v15
	v_lshlrev_b32_e32 v12, v12, v16
	v_lshlrev_b32_e32 v10, v10, v17
	v_cmp_ne_u32_e32 vcc_lo, v12, v14
	v_lshl_or_b32 v14, v11, 12, v4
	v_cndmask_b32_e64 v12, 0, 1, vcc_lo
	v_cmp_ne_u32_e32 vcc_lo, v10, v15
	v_lshl_or_b32 v15, v13, 12, v8
	v_or_b32_e32 v12, v16, v12
	v_cndmask_b32_e64 v10, 0, 1, vcc_lo
	v_cmp_gt_i32_e32 vcc_lo, 1, v11
	v_or_b32_e32 v10, v17, v10
	v_cndmask_b32_e32 v12, v14, v12, vcc_lo
	v_cmp_gt_i32_e32 vcc_lo, 1, v13
	v_and_b32_e32 v14, 7, v12
	v_cndmask_b32_e32 v10, v15, v10, vcc_lo
	v_cmp_ne_u32_e32 vcc_lo, 0, v4
	v_lshrrev_b32_e32 v12, 2, v12
	v_cmp_eq_u32_e64 s0, 3, v14
	v_and_b32_e32 v15, 7, v10
	v_cndmask_b32_e64 v4, 0, 1, vcc_lo
	v_cmp_ne_u32_e32 vcc_lo, 0, v8
	v_lshrrev_b32_e32 v10, 2, v10
	v_cmp_lt_i32_e64 s1, 5, v15
	v_cmp_eq_u32_e64 s2, 3, v15
	v_cndmask_b32_e64 v8, 0, 1, vcc_lo
	v_cmp_lt_i32_e32 vcc_lo, 5, v14
	v_lshl_or_b32 v4, v4, 9, 0x7c00
	v_lshl_or_b32 v8, v8, 9, 0x7c00
	s_or_b32 vcc_lo, s0, vcc_lo
	v_add_co_ci_u32_e32 v12, vcc_lo, 0, v12, vcc_lo
	s_or_b32 vcc_lo, s2, s1
	v_add_co_ci_u32_e32 v10, vcc_lo, 0, v10, vcc_lo
	v_cmp_gt_i32_e32 vcc_lo, 31, v11
	v_cndmask_b32_e32 v12, 0x7c00, v12, vcc_lo
	v_cmp_gt_i32_e32 vcc_lo, 31, v13
	v_cndmask_b32_e32 v10, 0x7c00, v10, vcc_lo
	v_cmp_eq_u32_e32 vcc_lo, 0x40f, v11
	v_cndmask_b32_e32 v4, v12, v4, vcc_lo
	v_cmp_eq_u32_e32 vcc_lo, 0x40f, v13
	v_and_or_b32 v4, 0x8000, v5, v4
	v_cndmask_b32_e32 v8, v10, v8, vcc_lo
	v_and_or_b32 v8, 0x8000, v9, v8
	v_and_b32_e32 v9, 0xffff, v4
	v_add_co_u32 v4, vcc_lo, v6, s6
	v_add_co_ci_u32_e32 v5, vcc_lo, s3, v7, vcc_lo
	v_lshl_or_b32 v6, v8, 16, v9
	global_store_dword v[4:5], v6, off
	global_load_dword v6, v[0:1], off offset:1664
	v_add_nc_u32_e32 v0, 0x1600, v44
	ds_read2_b32 v[0:1], v0 offset0:32 offset1:128
	s_waitcnt lgkmcnt(0)
	v_lshrrev_b32_e32 v7, 16, v0
	s_waitcnt vmcnt(0)
	v_mul_f16_sdwa v8, v7, v6 dst_sel:DWORD dst_unused:UNUSED_PAD src0_sel:DWORD src1_sel:WORD_1
	v_mul_f16_sdwa v9, v0, v6 dst_sel:DWORD dst_unused:UNUSED_PAD src0_sel:DWORD src1_sel:WORD_1
	v_fmac_f16_e32 v8, v0, v6
	v_fma_f16 v0, v6, v7, -v9
	v_cvt_f32_f16_e32 v6, v8
	v_cvt_f32_f16_e32 v0, v0
	v_cvt_f64_f32_e32 v[6:7], v6
	v_cvt_f64_f32_e32 v[8:9], v0
	v_mul_f64 v[6:7], v[6:7], s[8:9]
	v_mul_f64 v[8:9], v[8:9], s[8:9]
	v_and_or_b32 v0, 0x1ff, v7, v6
	v_and_or_b32 v8, 0x1ff, v9, v8
	v_lshrrev_b32_e32 v6, 8, v7
	v_bfe_u32 v10, v7, 20, 11
	v_lshrrev_b32_e32 v11, 8, v9
	v_cmp_ne_u32_e32 vcc_lo, 0, v0
	v_bfe_u32 v12, v9, 20, 11
	v_lshrrev_b32_e32 v7, 16, v7
	v_sub_nc_u32_e32 v13, 0x3f1, v10
	v_add_nc_u32_e32 v10, 0xfffffc10, v10
	v_cndmask_b32_e64 v0, 0, 1, vcc_lo
	v_cmp_ne_u32_e32 vcc_lo, 0, v8
	v_lshrrev_b32_e32 v9, 16, v9
	v_and_or_b32 v0, 0xffe, v6, v0
	v_cndmask_b32_e64 v8, 0, 1, vcc_lo
	v_sub_nc_u32_e32 v6, 0x3f1, v12
	v_add_nc_u32_e32 v12, 0xfffffc10, v12
	v_and_or_b32 v8, 0xffe, v11, v8
	v_med3_i32 v11, v13, 0, 13
	v_or_b32_e32 v13, 0x1000, v0
	v_med3_i32 v6, v6, 0, 13
	v_or_b32_e32 v14, 0x1000, v8
	v_lshrrev_b32_e32 v15, v11, v13
	v_lshrrev_b32_e32 v16, v6, v14
	v_lshlrev_b32_e32 v11, v11, v15
	v_lshlrev_b32_e32 v6, v6, v16
	v_cmp_ne_u32_e32 vcc_lo, v11, v13
	v_lshl_or_b32 v13, v10, 12, v0
	v_cndmask_b32_e64 v11, 0, 1, vcc_lo
	v_cmp_ne_u32_e32 vcc_lo, v6, v14
	v_lshl_or_b32 v14, v12, 12, v8
	v_or_b32_e32 v11, v15, v11
	v_cndmask_b32_e64 v6, 0, 1, vcc_lo
	v_cmp_gt_i32_e32 vcc_lo, 1, v10
	v_or_b32_e32 v6, v16, v6
	v_cndmask_b32_e32 v11, v13, v11, vcc_lo
	v_cmp_gt_i32_e32 vcc_lo, 1, v12
	v_and_b32_e32 v13, 7, v11
	v_cndmask_b32_e32 v6, v14, v6, vcc_lo
	v_cmp_ne_u32_e32 vcc_lo, 0, v0
	v_lshrrev_b32_e32 v11, 2, v11
	v_cmp_eq_u32_e64 s0, 3, v13
	v_and_b32_e32 v14, 7, v6
	v_cndmask_b32_e64 v0, 0, 1, vcc_lo
	v_cmp_ne_u32_e32 vcc_lo, 0, v8
	v_lshrrev_b32_e32 v6, 2, v6
	v_cmp_lt_i32_e64 s1, 5, v14
	v_cmp_eq_u32_e64 s2, 3, v14
	v_cndmask_b32_e64 v8, 0, 1, vcc_lo
	v_cmp_lt_i32_e32 vcc_lo, 5, v13
	v_lshl_or_b32 v0, v0, 9, 0x7c00
	v_lshl_or_b32 v8, v8, 9, 0x7c00
	s_or_b32 vcc_lo, s0, vcc_lo
	v_add_co_ci_u32_e32 v11, vcc_lo, 0, v11, vcc_lo
	s_or_b32 vcc_lo, s2, s1
	v_add_co_ci_u32_e32 v6, vcc_lo, 0, v6, vcc_lo
	v_cmp_gt_i32_e32 vcc_lo, 31, v10
	v_cndmask_b32_e32 v11, 0x7c00, v11, vcc_lo
	v_cmp_gt_i32_e32 vcc_lo, 31, v12
	v_cndmask_b32_e32 v6, 0x7c00, v6, vcc_lo
	v_cmp_eq_u32_e32 vcc_lo, 0x40f, v10
	v_cndmask_b32_e32 v0, v11, v0, vcc_lo
	v_cmp_eq_u32_e32 vcc_lo, 0x40f, v12
	v_and_or_b32 v0, 0x8000, v7, v0
	v_cndmask_b32_e32 v6, v6, v8, vcc_lo
	v_add_co_u32 v4, vcc_lo, v4, s6
	v_add_co_ci_u32_e32 v5, vcc_lo, s3, v5, vcc_lo
	v_and_or_b32 v6, 0x8000, v9, v6
	v_and_b32_e32 v0, 0xffff, v0
	v_lshl_or_b32 v0, v6, 16, v0
	v_lshlrev_b32_e32 v6, 2, v180
	global_store_dword v[4:5], v0, off
	global_load_dword v0, v6, s[12:13]
	v_lshrrev_b32_e32 v4, 16, v1
	s_waitcnt vmcnt(0)
	v_mul_f16_sdwa v5, v4, v0 dst_sel:DWORD dst_unused:UNUSED_PAD src0_sel:DWORD src1_sel:WORD_1
	v_mul_f16_sdwa v6, v1, v0 dst_sel:DWORD dst_unused:UNUSED_PAD src0_sel:DWORD src1_sel:WORD_1
	v_fmac_f16_e32 v5, v1, v0
	v_fma_f16 v0, v0, v4, -v6
	v_cvt_f32_f16_e32 v1, v5
	v_cvt_f32_f16_e32 v4, v0
	v_cvt_f64_f32_e32 v[0:1], v1
	v_cvt_f64_f32_e32 v[4:5], v4
	v_mul_f64 v[0:1], v[0:1], s[8:9]
	v_mul_f64 v[4:5], v[4:5], s[8:9]
	v_and_or_b32 v0, 0x1ff, v1, v0
	v_and_or_b32 v4, 0x1ff, v5, v4
	v_lshrrev_b32_e32 v6, 8, v1
	v_bfe_u32 v8, v1, 20, 11
	v_bfe_u32 v9, v5, 20, 11
	v_cmp_ne_u32_e32 vcc_lo, 0, v0
	v_lshrrev_b32_e32 v7, 8, v5
	v_lshrrev_b32_e32 v5, 16, v5
	v_sub_nc_u32_e32 v10, 0x3f1, v8
	v_sub_nc_u32_e32 v11, 0x3f1, v9
	v_cndmask_b32_e64 v0, 0, 1, vcc_lo
	v_cmp_ne_u32_e32 vcc_lo, 0, v4
	v_add_nc_u32_e32 v9, 0xfffffc10, v9
	v_and_or_b32 v12, 0xffe, v6, v0
	v_cndmask_b32_e64 v4, 0, 1, vcc_lo
	v_med3_i32 v0, v10, 0, 13
	v_med3_i32 v10, v11, 0, 13
	v_or_b32_e32 v11, 0x1000, v12
	v_and_or_b32 v4, 0xffe, v7, v4
	v_mad_u64_u32 v[6:7], null, s4, v180, 0
	v_lshrrev_b32_e32 v14, v0, v11
	v_or_b32_e32 v13, 0x1000, v4
	v_lshlrev_b32_e32 v16, v0, v14
	v_lshrrev_b32_e32 v15, v10, v13
	v_mov_b32_e32 v0, v7
	v_cmp_ne_u32_e32 vcc_lo, v16, v11
	v_lshlrev_b32_e32 v7, v10, v15
	v_add_nc_u32_e32 v10, 0xfffffc10, v8
	v_cndmask_b32_e64 v11, 0, 1, vcc_lo
	v_cmp_ne_u32_e32 vcc_lo, v7, v13
	v_mad_u64_u32 v[7:8], null, s5, v180, v[0:1]
	v_lshl_or_b32 v0, v10, 12, v12
	v_or_b32_e32 v8, v14, v11
	v_cndmask_b32_e64 v13, 0, 1, vcc_lo
	v_cmp_gt_i32_e32 vcc_lo, 1, v10
	v_lshl_or_b32 v11, v9, 12, v4
	v_lshrrev_b32_e32 v1, 16, v1
	v_or_b32_e32 v13, v15, v13
	v_cndmask_b32_e32 v0, v0, v8, vcc_lo
	v_cmp_gt_i32_e32 vcc_lo, 1, v9
	v_cndmask_b32_e32 v8, v11, v13, vcc_lo
	v_cmp_ne_u32_e32 vcc_lo, 0, v12
	v_and_b32_e32 v12, 7, v0
	v_lshrrev_b32_e32 v0, 2, v0
	v_and_b32_e32 v13, 7, v8
	v_cndmask_b32_e64 v11, 0, 1, vcc_lo
	v_cmp_ne_u32_e32 vcc_lo, 0, v4
	v_cmp_eq_u32_e64 s0, 3, v12
	v_lshrrev_b32_e32 v8, 2, v8
	v_cmp_lt_i32_e64 s1, 5, v13
	v_cmp_eq_u32_e64 s2, 3, v13
	v_cndmask_b32_e64 v4, 0, 1, vcc_lo
	v_cmp_lt_i32_e32 vcc_lo, 5, v12
	v_lshl_or_b32 v11, v11, 9, 0x7c00
	v_lshl_or_b32 v4, v4, 9, 0x7c00
	s_or_b32 vcc_lo, s0, vcc_lo
	v_add_co_ci_u32_e32 v0, vcc_lo, 0, v0, vcc_lo
	s_or_b32 vcc_lo, s2, s1
	v_add_co_ci_u32_e32 v8, vcc_lo, 0, v8, vcc_lo
	v_cmp_gt_i32_e32 vcc_lo, 31, v10
	v_cndmask_b32_e32 v0, 0x7c00, v0, vcc_lo
	v_cmp_gt_i32_e32 vcc_lo, 31, v9
	v_cndmask_b32_e32 v8, 0x7c00, v8, vcc_lo
	v_cmp_eq_u32_e32 vcc_lo, 0x40f, v10
	v_cndmask_b32_e32 v0, v0, v11, vcc_lo
	v_cmp_eq_u32_e32 vcc_lo, 0x40f, v9
	v_and_or_b32 v0, 0x8000, v1, v0
	v_cndmask_b32_e32 v4, v8, v4, vcc_lo
	v_and_or_b32 v4, 0x8000, v5, v4
	v_and_b32_e32 v5, 0xffff, v0
	v_lshlrev_b64 v[0:1], 2, v[6:7]
	v_lshl_or_b32 v4, v4, 16, v5
	v_add_co_u32 v0, vcc_lo, v2, v0
	v_add_co_ci_u32_e32 v1, vcc_lo, v3, v1, vcc_lo
	global_store_dword v[0:1], v4, off
.LBB0_23:
	s_endpgm
	.section	.rodata,"a",@progbits
	.p2align	6, 0x0
	.amdhsa_kernel bluestein_single_fwd_len1632_dim1_half_op_CI_CI
		.amdhsa_group_segment_fixed_size 6528
		.amdhsa_private_segment_fixed_size 32
		.amdhsa_kernarg_size 104
		.amdhsa_user_sgpr_count 6
		.amdhsa_user_sgpr_private_segment_buffer 1
		.amdhsa_user_sgpr_dispatch_ptr 0
		.amdhsa_user_sgpr_queue_ptr 0
		.amdhsa_user_sgpr_kernarg_segment_ptr 1
		.amdhsa_user_sgpr_dispatch_id 0
		.amdhsa_user_sgpr_flat_scratch_init 0
		.amdhsa_user_sgpr_private_segment_size 0
		.amdhsa_wavefront_size32 1
		.amdhsa_uses_dynamic_stack 0
		.amdhsa_system_sgpr_private_segment_wavefront_offset 1
		.amdhsa_system_sgpr_workgroup_id_x 1
		.amdhsa_system_sgpr_workgroup_id_y 0
		.amdhsa_system_sgpr_workgroup_id_z 0
		.amdhsa_system_sgpr_workgroup_info 0
		.amdhsa_system_vgpr_workitem_id 0
		.amdhsa_next_free_vgpr 256
		.amdhsa_next_free_sgpr 20
		.amdhsa_reserve_vcc 1
		.amdhsa_reserve_flat_scratch 0
		.amdhsa_float_round_mode_32 0
		.amdhsa_float_round_mode_16_64 0
		.amdhsa_float_denorm_mode_32 3
		.amdhsa_float_denorm_mode_16_64 3
		.amdhsa_dx10_clamp 1
		.amdhsa_ieee_mode 1
		.amdhsa_fp16_overflow 0
		.amdhsa_workgroup_processor_mode 1
		.amdhsa_memory_ordered 1
		.amdhsa_forward_progress 0
		.amdhsa_shared_vgpr_count 0
		.amdhsa_exception_fp_ieee_invalid_op 0
		.amdhsa_exception_fp_denorm_src 0
		.amdhsa_exception_fp_ieee_div_zero 0
		.amdhsa_exception_fp_ieee_overflow 0
		.amdhsa_exception_fp_ieee_underflow 0
		.amdhsa_exception_fp_ieee_inexact 0
		.amdhsa_exception_int_div_zero 0
	.end_amdhsa_kernel
	.text
.Lfunc_end0:
	.size	bluestein_single_fwd_len1632_dim1_half_op_CI_CI, .Lfunc_end0-bluestein_single_fwd_len1632_dim1_half_op_CI_CI
                                        ; -- End function
	.section	.AMDGPU.csdata,"",@progbits
; Kernel info:
; codeLenInByte = 34448
; NumSgprs: 22
; NumVgprs: 256
; ScratchSize: 32
; MemoryBound: 0
; FloatMode: 240
; IeeeMode: 1
; LDSByteSize: 6528 bytes/workgroup (compile time only)
; SGPRBlocks: 2
; VGPRBlocks: 31
; NumSGPRsForWavesPerEU: 22
; NumVGPRsForWavesPerEU: 256
; Occupancy: 4
; WaveLimiterHint : 1
; COMPUTE_PGM_RSRC2:SCRATCH_EN: 1
; COMPUTE_PGM_RSRC2:USER_SGPR: 6
; COMPUTE_PGM_RSRC2:TRAP_HANDLER: 0
; COMPUTE_PGM_RSRC2:TGID_X_EN: 1
; COMPUTE_PGM_RSRC2:TGID_Y_EN: 0
; COMPUTE_PGM_RSRC2:TGID_Z_EN: 0
; COMPUTE_PGM_RSRC2:TIDIG_COMP_CNT: 0
	.text
	.p2alignl 6, 3214868480
	.fill 48, 4, 3214868480
	.type	__hip_cuid_bf98c9995263ce0d,@object ; @__hip_cuid_bf98c9995263ce0d
	.section	.bss,"aw",@nobits
	.globl	__hip_cuid_bf98c9995263ce0d
__hip_cuid_bf98c9995263ce0d:
	.byte	0                               ; 0x0
	.size	__hip_cuid_bf98c9995263ce0d, 1

	.ident	"AMD clang version 19.0.0git (https://github.com/RadeonOpenCompute/llvm-project roc-6.4.0 25133 c7fe45cf4b819c5991fe208aaa96edf142730f1d)"
	.section	".note.GNU-stack","",@progbits
	.addrsig
	.addrsig_sym __hip_cuid_bf98c9995263ce0d
	.amdgpu_metadata
---
amdhsa.kernels:
  - .args:
      - .actual_access:  read_only
        .address_space:  global
        .offset:         0
        .size:           8
        .value_kind:     global_buffer
      - .actual_access:  read_only
        .address_space:  global
        .offset:         8
        .size:           8
        .value_kind:     global_buffer
      - .actual_access:  read_only
        .address_space:  global
        .offset:         16
        .size:           8
        .value_kind:     global_buffer
      - .actual_access:  read_only
        .address_space:  global
        .offset:         24
        .size:           8
        .value_kind:     global_buffer
      - .actual_access:  read_only
        .address_space:  global
        .offset:         32
        .size:           8
        .value_kind:     global_buffer
      - .offset:         40
        .size:           8
        .value_kind:     by_value
      - .address_space:  global
        .offset:         48
        .size:           8
        .value_kind:     global_buffer
      - .address_space:  global
        .offset:         56
        .size:           8
        .value_kind:     global_buffer
      - .address_space:  global
        .offset:         64
        .size:           8
        .value_kind:     global_buffer
      - .address_space:  global
        .offset:         72
        .size:           8
        .value_kind:     global_buffer
      - .offset:         80
        .size:           4
        .value_kind:     by_value
      - .address_space:  global
        .offset:         88
        .size:           8
        .value_kind:     global_buffer
      - .address_space:  global
        .offset:         96
        .size:           8
        .value_kind:     global_buffer
    .group_segment_fixed_size: 6528
    .kernarg_segment_align: 8
    .kernarg_segment_size: 104
    .language:       OpenCL C
    .language_version:
      - 2
      - 0
    .max_flat_workgroup_size: 102
    .name:           bluestein_single_fwd_len1632_dim1_half_op_CI_CI
    .private_segment_fixed_size: 32
    .sgpr_count:     22
    .sgpr_spill_count: 0
    .symbol:         bluestein_single_fwd_len1632_dim1_half_op_CI_CI.kd
    .uniform_work_group_size: 1
    .uses_dynamic_stack: false
    .vgpr_count:     256
    .vgpr_spill_count: 7
    .wavefront_size: 32
    .workgroup_processor_mode: 1
amdhsa.target:   amdgcn-amd-amdhsa--gfx1030
amdhsa.version:
  - 1
  - 2
...

	.end_amdgpu_metadata
